;; amdgpu-corpus repo=ROCm/rocFFT kind=compiled arch=gfx906 opt=O3
	.text
	.amdgcn_target "amdgcn-amd-amdhsa--gfx906"
	.amdhsa_code_object_version 6
	.protected	bluestein_single_fwd_len1870_dim1_half_op_CI_CI ; -- Begin function bluestein_single_fwd_len1870_dim1_half_op_CI_CI
	.globl	bluestein_single_fwd_len1870_dim1_half_op_CI_CI
	.p2align	8
	.type	bluestein_single_fwd_len1870_dim1_half_op_CI_CI,@function
bluestein_single_fwd_len1870_dim1_half_op_CI_CI: ; @bluestein_single_fwd_len1870_dim1_half_op_CI_CI
; %bb.0:
	s_load_dwordx4 s[0:3], s[4:5], 0x28
	v_mul_u32_u24_e32 v1, 0x15f, v0
	v_add_u32_sdwa v16, s6, v1 dst_sel:DWORD dst_unused:UNUSED_PAD src0_sel:DWORD src1_sel:WORD_1
	v_mov_b32_e32 v17, 0
	s_waitcnt lgkmcnt(0)
	v_cmp_gt_u64_e32 vcc, s[0:1], v[16:17]
	s_and_saveexec_b64 s[0:1], vcc
	s_cbranch_execz .LBB0_23
; %bb.1:
	s_load_dwordx2 s[6:7], s[4:5], 0x0
	s_load_dwordx2 s[12:13], s[4:5], 0x38
	s_movk_i32 s0, 0xbb
	v_mul_lo_u16_sdwa v1, v1, s0 dst_sel:DWORD dst_unused:UNUSED_PAD src0_sel:WORD_1 src1_sel:DWORD
	v_sub_u16_e32 v37, v0, v1
	s_movk_i32 s0, 0x6e
	v_cmp_gt_u16_e64 s[0:1], s0, v37
	v_lshlrev_b32_e32 v36, 2, v37
	s_and_saveexec_b64 s[8:9], s[0:1]
	s_cbranch_execz .LBB0_3
; %bb.2:
	s_load_dwordx2 s[10:11], s[4:5], 0x18
	s_waitcnt lgkmcnt(0)
	v_mov_b32_e32 v12, s7
	v_add_u32_e32 v13, 0x200, v36
	s_load_dwordx4 s[16:19], s[10:11], 0x0
	s_waitcnt lgkmcnt(0)
	v_mad_u64_u32 v[0:1], s[10:11], s18, v16, 0
	v_mad_u64_u32 v[2:3], s[10:11], s16, v37, 0
	;; [unrolled: 1-line block ×4, first 2 shown]
	v_mov_b32_e32 v1, v4
	v_lshlrev_b64 v[0:1], 2, v[0:1]
	v_mov_b32_e32 v3, v5
	v_mov_b32_e32 v6, s3
	v_lshlrev_b64 v[2:3], 2, v[2:3]
	v_add_co_u32_e32 v0, vcc, s2, v0
	v_addc_co_u32_e32 v1, vcc, v6, v1, vcc
	v_add_co_u32_e32 v0, vcc, v0, v2
	s_mul_i32 s2, s17, 0x1b8
	s_mul_hi_u32 s3, s16, 0x1b8
	v_addc_co_u32_e32 v1, vcc, v1, v3, vcc
	s_add_i32 s2, s3, s2
	s_mul_i32 s3, s16, 0x1b8
	v_mov_b32_e32 v3, s2
	v_add_co_u32_e32 v2, vcc, s3, v0
	v_addc_co_u32_e32 v3, vcc, v1, v3, vcc
	global_load_dword v4, v[0:1], off
	global_load_dword v5, v[2:3], off
	global_load_dword v6, v36, s[6:7]
	global_load_dword v7, v36, s[6:7] offset:440
	v_mov_b32_e32 v1, s2
	v_add_co_u32_e32 v0, vcc, s3, v2
	v_addc_co_u32_e32 v1, vcc, v3, v1, vcc
	global_load_dword v2, v[0:1], off
	global_load_dword v3, v36, s[6:7] offset:880
	v_mov_b32_e32 v8, s2
	v_add_co_u32_e32 v0, vcc, s3, v0
	v_addc_co_u32_e32 v1, vcc, v1, v8, vcc
	global_load_dword v8, v[0:1], off
	;; [unrolled: 5-line block ×3, first 2 shown]
	global_load_dword v11, v36, s[6:7] offset:1760
	v_add_co_u32_e32 v18, vcc, s6, v36
	v_addc_co_u32_e32 v12, vcc, 0, v12, vcc
	v_mov_b32_e32 v19, s2
	v_add_co_u32_e32 v0, vcc, s3, v0
	v_addc_co_u32_e32 v1, vcc, v1, v19, vcc
	global_load_dword v14, v36, s[6:7] offset:2200
	global_load_dword v15, v36, s[6:7] offset:2640
	;; [unrolled: 1-line block ×3, first 2 shown]
	global_load_dword v19, v[0:1], off
	v_mov_b32_e32 v20, s2
	v_add_co_u32_e32 v0, vcc, s3, v0
	v_addc_co_u32_e32 v1, vcc, v1, v20, vcc
	global_load_dword v20, v[0:1], off
	v_mov_b32_e32 v21, s2
	v_add_co_u32_e32 v0, vcc, s3, v0
	v_addc_co_u32_e32 v1, vcc, v1, v21, vcc
	s_movk_i32 s10, 0x1000
	v_mov_b32_e32 v27, s2
	s_waitcnt vmcnt(14)
	v_lshrrev_b32_e32 v22, 16, v4
	s_waitcnt vmcnt(12)
	v_mul_f16_sdwa v23, v6, v4 dst_sel:DWORD dst_unused:UNUSED_PAD src0_sel:WORD_1 src1_sel:DWORD
	v_mul_f16_sdwa v24, v6, v22 dst_sel:DWORD dst_unused:UNUSED_PAD src0_sel:WORD_1 src1_sel:DWORD
	v_fma_f16 v22, v6, v22, -v23
	v_lshrrev_b32_e32 v23, 16, v5
	s_waitcnt vmcnt(11)
	v_mul_f16_sdwa v25, v7, v5 dst_sel:DWORD dst_unused:UNUSED_PAD src0_sel:WORD_1 src1_sel:DWORD
	v_fma_f16 v4, v6, v4, v24
	v_mul_f16_sdwa v6, v7, v23 dst_sel:DWORD dst_unused:UNUSED_PAD src0_sel:WORD_1 src1_sel:DWORD
	s_waitcnt vmcnt(10)
	v_lshrrev_b32_e32 v24, 16, v2
	v_fma_f16 v23, v7, v23, -v25
	s_waitcnt vmcnt(9)
	v_mul_f16_sdwa v25, v3, v2 dst_sel:DWORD dst_unused:UNUSED_PAD src0_sel:WORD_1 src1_sel:DWORD
	v_pack_b32_f16 v4, v4, v22
	v_fma_f16 v5, v7, v5, v6
	v_mul_f16_sdwa v6, v3, v24 dst_sel:DWORD dst_unused:UNUSED_PAD src0_sel:WORD_1 src1_sel:DWORD
	s_waitcnt vmcnt(8)
	v_lshrrev_b32_e32 v22, 16, v8
	v_fma_f16 v7, v3, v24, -v25
	s_waitcnt vmcnt(7)
	v_mul_f16_sdwa v24, v9, v8 dst_sel:DWORD dst_unused:UNUSED_PAD src0_sel:WORD_1 src1_sel:DWORD
	v_fma_f16 v2, v3, v2, v6
	v_mul_f16_sdwa v3, v9, v22 dst_sel:DWORD dst_unused:UNUSED_PAD src0_sel:WORD_1 src1_sel:DWORD
	v_fma_f16 v6, v9, v22, -v24
	v_fma_f16 v3, v9, v8, v3
	v_pack_b32_f16 v3, v3, v6
	global_load_dword v6, v[0:1], off
	v_pack_b32_f16 v5, v5, v23
	v_pack_b32_f16 v2, v2, v7
	ds_write2_b32 v36, v4, v5 offset1:110
	ds_write2_b32 v13, v2, v3 offset0:92 offset1:202
	v_mov_b32_e32 v2, s2
	v_add_co_u32_e32 v0, vcc, s3, v0
	v_addc_co_u32_e32 v1, vcc, v1, v2, vcc
	s_waitcnt vmcnt(7)
	v_lshrrev_b32_e32 v22, 16, v10
	global_load_dword v7, v[0:1], off
	v_add_co_u32_e32 v0, vcc, s3, v0
	s_waitcnt vmcnt(7)
	v_mul_f16_sdwa v4, v11, v22 dst_sel:DWORD dst_unused:UNUSED_PAD src0_sel:WORD_1 src1_sel:DWORD
	v_addc_co_u32_e32 v1, vcc, v1, v2, vcc
	v_mul_f16_sdwa v23, v11, v10 dst_sel:DWORD dst_unused:UNUSED_PAD src0_sel:WORD_1 src1_sel:DWORD
	v_fma_f16 v4, v11, v10, v4
	global_load_dword v8, v[0:1], off
	global_load_dword v9, v36, s[6:7] offset:3520
	global_load_dword v10, v36, s[6:7] offset:3960
	v_add_co_u32_e32 v0, vcc, s3, v0
	v_addc_co_u32_e32 v1, vcc, v1, v2, vcc
	v_add_co_u32_e32 v2, vcc, s10, v18
	v_fma_f16 v5, v11, v22, -v23
	global_load_dword v11, v[0:1], off
	v_addc_co_u32_e32 v3, vcc, 0, v12, vcc
	global_load_dword v12, v[2:3], off offset:304
	v_mov_b32_e32 v13, s2
	v_add_co_u32_e32 v0, vcc, s3, v0
	v_addc_co_u32_e32 v1, vcc, v1, v13, vcc
	global_load_dword v13, v[0:1], off
	global_load_dword v18, v[2:3], off offset:744
	v_add_co_u32_e32 v0, vcc, s3, v0
	v_addc_co_u32_e32 v1, vcc, v1, v21, vcc
	global_load_dword v21, v[0:1], off
	global_load_dword v22, v[2:3], off offset:1184
	v_mov_b32_e32 v23, s2
	v_add_co_u32_e32 v0, vcc, s3, v0
	v_addc_co_u32_e32 v1, vcc, v1, v23, vcc
	global_load_dword v23, v[0:1], off
	global_load_dword v24, v[2:3], off offset:1624
	v_mov_b32_e32 v25, s2
	v_add_co_u32_e32 v0, vcc, s3, v0
	v_addc_co_u32_e32 v1, vcc, v1, v25, vcc
	global_load_dword v25, v[0:1], off
	global_load_dword v26, v[2:3], off offset:2064
	v_add_co_u32_e32 v0, vcc, s3, v0
	v_addc_co_u32_e32 v1, vcc, v1, v27, vcc
	global_load_dword v27, v[0:1], off
	global_load_dword v28, v[2:3], off offset:2504
	v_pack_b32_f16 v4, v4, v5
	v_mov_b32_e32 v5, s2
	v_add_co_u32_e32 v0, vcc, s3, v0
	v_addc_co_u32_e32 v1, vcc, v1, v5, vcc
	global_load_dword v5, v[0:1], off
	global_load_dword v29, v[2:3], off offset:2944
	s_waitcnt vmcnt(20)
	v_lshrrev_b32_e32 v0, 16, v19
	v_mul_f16_sdwa v1, v14, v0 dst_sel:DWORD dst_unused:UNUSED_PAD src0_sel:WORD_1 src1_sel:DWORD
	v_mul_f16_sdwa v2, v14, v19 dst_sel:DWORD dst_unused:UNUSED_PAD src0_sel:WORD_1 src1_sel:DWORD
	v_fma_f16 v1, v14, v19, v1
	v_fma_f16 v0, v14, v0, -v2
	v_pack_b32_f16 v0, v1, v0
	v_add_u32_e32 v1, 0x600, v36
	ds_write2_b32 v1, v4, v0 offset0:56 offset1:166
	s_waitcnt vmcnt(19)
	v_lshrrev_b32_e32 v0, 16, v20
	v_mul_f16_sdwa v1, v15, v0 dst_sel:DWORD dst_unused:UNUSED_PAD src0_sel:WORD_1 src1_sel:DWORD
	v_mul_f16_sdwa v2, v15, v20 dst_sel:DWORD dst_unused:UNUSED_PAD src0_sel:WORD_1 src1_sel:DWORD
	v_fma_f16 v1, v15, v20, v1
	v_fma_f16 v0, v15, v0, -v2
	v_pack_b32_f16 v0, v1, v0
	s_waitcnt vmcnt(18)
	v_lshrrev_b32_e32 v1, 16, v6
	v_mul_f16_sdwa v2, v17, v1 dst_sel:DWORD dst_unused:UNUSED_PAD src0_sel:WORD_1 src1_sel:DWORD
	v_mul_f16_sdwa v3, v17, v6 dst_sel:DWORD dst_unused:UNUSED_PAD src0_sel:WORD_1 src1_sel:DWORD
	v_fma_f16 v2, v17, v6, v2
	v_fma_f16 v1, v17, v1, -v3
	v_pack_b32_f16 v1, v2, v1
	v_add_u32_e32 v2, 0xa00, v36
	ds_write2_b32 v2, v0, v1 offset0:20 offset1:130
	s_waitcnt vmcnt(17)
	v_lshrrev_b32_e32 v0, 16, v7
	s_waitcnt vmcnt(15)
	v_mul_f16_sdwa v1, v9, v0 dst_sel:DWORD dst_unused:UNUSED_PAD src0_sel:WORD_1 src1_sel:DWORD
	v_mul_f16_sdwa v2, v9, v7 dst_sel:DWORD dst_unused:UNUSED_PAD src0_sel:WORD_1 src1_sel:DWORD
	v_fma_f16 v1, v9, v7, v1
	v_fma_f16 v0, v9, v0, -v2
	v_pack_b32_f16 v0, v1, v0
	v_lshrrev_b32_e32 v1, 16, v8
	s_waitcnt vmcnt(14)
	v_mul_f16_sdwa v2, v10, v1 dst_sel:DWORD dst_unused:UNUSED_PAD src0_sel:WORD_1 src1_sel:DWORD
	v_mul_f16_sdwa v3, v10, v8 dst_sel:DWORD dst_unused:UNUSED_PAD src0_sel:WORD_1 src1_sel:DWORD
	v_fma_f16 v2, v10, v8, v2
	v_fma_f16 v1, v10, v1, -v3
	v_pack_b32_f16 v1, v2, v1
	v_add_u32_e32 v2, 0xc00, v36
	ds_write2_b32 v2, v0, v1 offset0:112 offset1:222
	s_waitcnt vmcnt(13)
	v_lshrrev_b32_e32 v0, 16, v11
	s_waitcnt vmcnt(12)
	v_mul_f16_sdwa v1, v12, v0 dst_sel:DWORD dst_unused:UNUSED_PAD src0_sel:WORD_1 src1_sel:DWORD
	v_mul_f16_sdwa v2, v12, v11 dst_sel:DWORD dst_unused:UNUSED_PAD src0_sel:WORD_1 src1_sel:DWORD
	v_fma_f16 v1, v12, v11, v1
	v_fma_f16 v0, v12, v0, -v2
	v_pack_b32_f16 v0, v1, v0
	s_waitcnt vmcnt(11)
	v_lshrrev_b32_e32 v1, 16, v13
	s_waitcnt vmcnt(10)
	v_mul_f16_sdwa v2, v18, v1 dst_sel:DWORD dst_unused:UNUSED_PAD src0_sel:WORD_1 src1_sel:DWORD
	v_mul_f16_sdwa v3, v18, v13 dst_sel:DWORD dst_unused:UNUSED_PAD src0_sel:WORD_1 src1_sel:DWORD
	v_fma_f16 v2, v18, v13, v2
	v_fma_f16 v1, v18, v1, -v3
	v_pack_b32_f16 v1, v2, v1
	v_add_u32_e32 v2, 0x1000, v36
	ds_write2_b32 v2, v0, v1 offset0:76 offset1:186
	s_waitcnt vmcnt(9)
	v_lshrrev_b32_e32 v0, 16, v21
	s_waitcnt vmcnt(8)
	v_mul_f16_sdwa v1, v22, v0 dst_sel:DWORD dst_unused:UNUSED_PAD src0_sel:WORD_1 src1_sel:DWORD
	v_mul_f16_sdwa v2, v22, v21 dst_sel:DWORD dst_unused:UNUSED_PAD src0_sel:WORD_1 src1_sel:DWORD
	v_fma_f16 v1, v22, v21, v1
	v_fma_f16 v0, v22, v0, -v2
	v_pack_b32_f16 v0, v1, v0
	s_waitcnt vmcnt(7)
	;; [unrolled: 18-line block ×3, first 2 shown]
	v_lshrrev_b32_e32 v1, 16, v27
	s_waitcnt vmcnt(2)
	v_mul_f16_sdwa v2, v28, v1 dst_sel:DWORD dst_unused:UNUSED_PAD src0_sel:WORD_1 src1_sel:DWORD
	v_mul_f16_sdwa v3, v28, v27 dst_sel:DWORD dst_unused:UNUSED_PAD src0_sel:WORD_1 src1_sel:DWORD
	v_fma_f16 v2, v28, v27, v2
	v_fma_f16 v1, v28, v1, -v3
	v_pack_b32_f16 v1, v2, v1
	v_add_u32_e32 v2, 0x1800, v36
	ds_write2_b32 v2, v0, v1 offset0:4 offset1:114
	s_waitcnt vmcnt(1)
	v_lshrrev_b32_e32 v0, 16, v5
	s_waitcnt vmcnt(0)
	v_mul_f16_sdwa v1, v29, v0 dst_sel:DWORD dst_unused:UNUSED_PAD src0_sel:WORD_1 src1_sel:DWORD
	v_mul_f16_sdwa v2, v29, v5 dst_sel:DWORD dst_unused:UNUSED_PAD src0_sel:WORD_1 src1_sel:DWORD
	v_fma_f16 v1, v29, v5, v1
	v_fma_f16 v0, v29, v0, -v2
	v_pack_b32_f16 v0, v1, v0
	ds_write_b32 v36, v0 offset:7040
.LBB0_3:
	s_or_b64 exec, exec, s[8:9]
	s_load_dwordx2 s[2:3], s[4:5], 0x20
	s_load_dwordx2 s[14:15], s[4:5], 0x8
	v_mov_b32_e32 v0, 0
	s_waitcnt lgkmcnt(0)
	s_barrier
	s_waitcnt lgkmcnt(0)
                                        ; implicit-def: $vgpr21
                                        ; implicit-def: $vgpr11
                                        ; implicit-def: $vgpr9
                                        ; implicit-def: $vgpr7
                                        ; implicit-def: $vgpr5
                                        ; implicit-def: $vgpr3
                                        ; implicit-def: $vgpr13
                                        ; implicit-def: $vgpr15
                                        ; implicit-def: $vgpr53
	s_and_saveexec_b64 s[4:5], s[0:1]
	s_cbranch_execz .LBB0_5
; %bb.4:
	v_add_u32_e32 v2, 0x200, v36
	ds_read2_b32 v[14:15], v2 offset0:92 offset1:202
	v_add_u32_e32 v2, 0x600, v36
	ds_read2_b32 v[12:13], v2 offset0:56 offset1:166
	v_add_u32_e32 v2, 0xa00, v36
	v_add_u32_e32 v4, 0xc00, v36
	;; [unrolled: 1-line block ×5, first 2 shown]
	ds_read2_b32 v[0:1], v36 offset1:110
	ds_read2_b32 v[2:3], v2 offset0:20 offset1:130
	ds_read2_b32 v[4:5], v4 offset0:112 offset1:222
	;; [unrolled: 1-line block ×5, first 2 shown]
	ds_read_b32 v21, v36 offset:7040
	s_waitcnt lgkmcnt(8)
	v_alignbit_b32 v53, v14, v14, 16
.LBB0_5:
	s_or_b64 exec, exec, s[4:5]
	s_waitcnt lgkmcnt(0)
	v_pk_add_f16 v23, v1, v21 neg_lo:[0,1] neg_hi:[0,1]
	s_mov_b32 s4, 0xbbf7
	v_pk_add_f16 v14, v21, v1
	s_movk_i32 s8, 0x2de8
	v_mul_f16_sdwa v30, v23, s4 dst_sel:DWORD dst_unused:UNUSED_PAD src0_sel:WORD_1 src1_sel:DWORD
	s_mov_b32 s16, 0xbbb2
	v_pk_add_f16 v24, v11, v53 op_sel:[1,0] op_sel_hi:[0,1]
	v_pk_add_f16 v25, v53, v11 op_sel:[1,0] op_sel_hi:[0,1] neg_lo:[0,1] neg_hi:[0,1]
	s_mov_b32 s19, 0xb1e1
	v_fma_f16 v17, v14, s8, v30
	s_mov_b32 s11, 0xb461
	v_mul_f16_sdwa v33, v23, s16 dst_sel:DWORD dst_unused:UNUSED_PAD src0_sel:WORD_1 src1_sel:DWORD
	v_lshrrev_b32_e32 v61, 16, v24
	s_mov_b32 s18, 0xbbdd
	v_mul_f16_sdwa v34, v25, s19 dst_sel:DWORD dst_unused:UNUSED_PAD src0_sel:WORD_1 src1_sel:DWORD
	s_movk_i32 s5, 0x3836
	v_add_f16_e32 v17, v17, v0
	v_fma_f16 v18, v14, s11, v33
	s_mov_b32 s17, 0xbacd
	v_fma_f16 v19, v61, s18, v34
	v_mul_f16_sdwa v47, v25, s5 dst_sel:DWORD dst_unused:UNUSED_PAD src0_sel:WORD_1 src1_sel:DWORD
	s_movk_i32 s5, 0x3bb2
	v_pk_add_f16 v27, v15, v10 neg_lo:[0,1] neg_hi:[0,1]
	v_add_f16_e32 v18, v18, v0
	v_add_f16_e32 v17, v19, v17
	v_fma_f16 v19, v61, s17, v47
	v_pk_add_f16 v26, v10, v15
	v_mul_f16_sdwa v50, v27, s5 dst_sel:DWORD dst_unused:UNUSED_PAD src0_sel:WORD_1 src1_sel:DWORD
	s_movk_i32 s20, 0x3964
	s_movk_i32 s10, 0x39e9
	v_add_f16_e32 v18, v19, v18
	v_fma_f16 v19, v26, s11, v50
	v_mul_f16_sdwa v54, v27, s20 dst_sel:DWORD dst_unused:UNUSED_PAD src0_sel:WORD_1 src1_sel:DWORD
	v_pk_add_f16 v29, v12, v9 neg_lo:[0,1] neg_hi:[0,1]
	s_movk_i32 s22, 0x35c8
	s_movk_i32 s9, 0x3b76
	v_add_f16_e32 v17, v19, v17
	v_fma_f16 v19, v26, s10, v54
	v_pk_add_f16 v28, v9, v12
	v_mul_f16_sdwa v55, v29, s22 dst_sel:DWORD dst_unused:UNUSED_PAD src0_sel:WORD_1 src1_sel:DWORD
	s_mov_b32 s28, 0xbb29
	v_add_f16_e32 v18, v19, v18
	v_fma_f16 v19, v28, s9, v55
	s_movk_i32 s21, 0x3722
	v_mul_f16_sdwa v58, v29, s28 dst_sel:DWORD dst_unused:UNUSED_PAD src0_sel:WORD_1 src1_sel:DWORD
	v_pk_add_f16 v32, v13, v8 neg_lo:[0,1] neg_hi:[0,1]
	v_add_f16_e32 v17, v19, v17
	v_fma_f16 v19, v28, s21, v58
	v_pk_add_f16 v31, v8, v13
	v_mul_f16_sdwa v59, v32, s28 dst_sel:DWORD dst_unused:UNUSED_PAD src0_sel:WORD_1 src1_sel:DWORD
	v_add_f16_e32 v18, v19, v18
	v_fma_f16 v19, v31, s21, v59
	v_mul_f16_sdwa v60, v32, s19 dst_sel:DWORD dst_unused:UNUSED_PAD src0_sel:WORD_1 src1_sel:DWORD
	s_mov_b32 s23, 0xb836
	v_pk_add_f16 v46, v2, v7 neg_lo:[0,1] neg_hi:[0,1]
	v_add_f16_e32 v17, v19, v17
	v_fma_f16 v19, v31, s18, v60
	v_pk_add_f16 v35, v7, v2
	v_mul_f16_sdwa v62, v46, s23 dst_sel:DWORD dst_unused:UNUSED_PAD src0_sel:WORD_1 src1_sel:DWORD
	s_movk_i32 s24, 0x3bf7
	v_add_f16_e32 v18, v19, v18
	v_fma_f16 v19, v35, s17, v62
	v_mul_f16_sdwa v63, v46, s24 dst_sel:DWORD dst_unused:UNUSED_PAD src0_sel:WORD_1 src1_sel:DWORD
	s_movk_i32 s30, 0x3a62
	v_pk_add_f16 v52, v3, v6 neg_lo:[0,1] neg_hi:[0,1]
	v_add_f16_e32 v17, v19, v17
	v_fma_f16 v19, v35, s8, v63
	s_mov_b32 s25, 0xb8d2
	v_pk_add_f16 v51, v6, v3
	v_mul_f16_sdwa v64, v52, s30 dst_sel:DWORD dst_unused:UNUSED_PAD src0_sel:WORD_1 src1_sel:DWORD
	s_mov_b32 s29, 0xb5c8
	v_add_f16_e32 v18, v19, v18
	v_fma_f16 v19, v51, s25, v64
	v_mul_f16_sdwa v67, v52, s29 dst_sel:DWORD dst_unused:UNUSED_PAD src0_sel:WORD_1 src1_sel:DWORD
	v_pk_add_f16 v57, v4, v5 neg_lo:[0,1] neg_hi:[0,1]
	v_add_f16_e32 v17, v19, v17
	v_fma_f16 v19, v51, s9, v67
	s_mov_b32 s26, 0xba62
	v_pk_add_f16 v56, v5, v4
	v_mul_f16_sdwa v70, v57, s20 dst_sel:DWORD dst_unused:UNUSED_PAD src0_sel:WORD_1 src1_sel:DWORD
	v_add_f16_e32 v19, v19, v18
	v_fma_f16 v18, v56, s10, v70
	v_mul_f16_sdwa v76, v57, s26 dst_sel:DWORD dst_unused:UNUSED_PAD src0_sel:WORD_1 src1_sel:DWORD
	v_add_f16_e32 v18, v18, v17
	v_fma_f16 v17, v56, s25, v76
	v_mul_f16_sdwa v65, v23, s29 dst_sel:DWORD dst_unused:UNUSED_PAD src0_sel:WORD_1 src1_sel:DWORD
	s_mov_b32 s31, 0xb964
	v_add_f16_e32 v17, v17, v19
	v_fma_f16 v19, v14, s9, v65
	v_mul_f16_sdwa v66, v25, s31 dst_sel:DWORD dst_unused:UNUSED_PAD src0_sel:WORD_1 src1_sel:DWORD
	v_add_f16_e32 v19, v19, v0
	v_fma_f16 v20, v61, s10, v66
	v_lshrrev_b32_e32 v136, 16, v14
	v_mul_f16_e32 v68, 0xb964, v23
	v_add_f16_e32 v19, v20, v19
	v_fma_f16 v20, v136, s10, -v68
	v_mul_f16_e32 v69, 0xbbf7, v25
	v_add_f16_sdwa v20, v20, v0 dst_sel:DWORD dst_unused:UNUSED_PAD src0_sel:DWORD src1_sel:WORD_1
	v_fma_f16 v22, v24, s8, -v69
	v_mul_f16_sdwa v71, v23, s28 dst_sel:DWORD dst_unused:UNUSED_PAD src0_sel:WORD_1 src1_sel:DWORD
	v_add_f16_e32 v20, v22, v20
	v_fma_f16 v22, v14, s21, v71
	v_mul_f16_sdwa v72, v25, s26 dst_sel:DWORD dst_unused:UNUSED_PAD src0_sel:WORD_1 src1_sel:DWORD
	v_add_f16_e32 v22, v22, v0
	v_fma_f16 v38, v61, s25, v72
	v_mul_f16_e32 v74, 0xbb29, v23
	v_add_f16_e32 v22, v38, v22
	v_fma_f16 v38, v136, s21, -v74
	v_mul_f16_e32 v75, 0xba62, v25
	v_add_f16_sdwa v38, v38, v0 dst_sel:DWORD dst_unused:UNUSED_PAD src0_sel:DWORD src1_sel:WORD_1
	v_fma_f16 v39, v24, s25, -v75
	v_mul_f16_e32 v80, 0xbbf7, v23
	v_add_f16_e32 v38, v39, v38
	v_fma_f16 v39, v136, s8, -v80
	v_mul_f16_e32 v81, 0xb1e1, v25
	v_add_f16_sdwa v39, v39, v0 dst_sel:DWORD dst_unused:UNUSED_PAD src0_sel:DWORD src1_sel:WORD_1
	v_fma_f16 v40, v24, s18, -v81
	;; [unrolled: 6-line block ×3, first 2 shown]
	v_mul_f16_sdwa v93, v23, s26 dst_sel:DWORD dst_unused:UNUSED_PAD src0_sel:WORD_1 src1_sel:DWORD
	v_add_f16_e32 v40, v41, v40
	v_fma_f16 v41, v14, s25, v93
	v_mul_f16_sdwa v94, v25, s5 dst_sel:DWORD dst_unused:UNUSED_PAD src0_sel:WORD_1 src1_sel:DWORD
	v_add_f16_e32 v41, v41, v0
	v_fma_f16 v42, v61, s11, v94
	v_mul_f16_e32 v100, 0xba62, v23
	v_add_f16_e32 v41, v42, v41
	v_fma_f16 v42, v136, s25, -v100
	v_mul_f16_e32 v102, 0x3bb2, v25
	v_add_f16_sdwa v42, v42, v0 dst_sel:DWORD dst_unused:UNUSED_PAD src0_sel:DWORD src1_sel:WORD_1
	v_fma_f16 v43, v24, s11, -v102
	v_mul_f16_sdwa v107, v23, s23 dst_sel:DWORD dst_unused:UNUSED_PAD src0_sel:WORD_1 src1_sel:DWORD
	s_movk_i32 s27, 0x3b29
	v_add_f16_e32 v42, v43, v42
	v_fma_f16 v43, v14, s17, v107
	v_mul_f16_sdwa v109, v25, s27 dst_sel:DWORD dst_unused:UNUSED_PAD src0_sel:WORD_1 src1_sel:DWORD
	v_add_f16_e32 v43, v43, v0
	v_fma_f16 v44, v61, s21, v109
	v_mul_f16_e32 v118, 0xb836, v23
	v_add_f16_e32 v43, v44, v43
	v_fma_f16 v44, v136, s17, -v118
	v_mul_f16_e32 v119, 0x3b29, v25
	v_add_f16_sdwa v44, v44, v0 dst_sel:DWORD dst_unused:UNUSED_PAD src0_sel:DWORD src1_sel:WORD_1
	v_fma_f16 v45, v24, s21, -v119
	v_mul_f16_sdwa v73, v27, s28 dst_sel:DWORD dst_unused:UNUSED_PAD src0_sel:WORD_1 src1_sel:DWORD
	v_add_f16_e32 v44, v45, v44
	v_fma_f16 v45, v26, s21, v73
	v_lshrrev_b32_e32 v151, 16, v26
	v_mul_f16_e32 v77, 0xba62, v27
	s_movk_i32 s28, 0x31e1
	v_add_f16_e32 v19, v45, v19
	v_fma_f16 v45, v151, s25, -v77
	v_mul_f16_sdwa v79, v27, s28 dst_sel:DWORD dst_unused:UNUSED_PAD src0_sel:WORD_1 src1_sel:DWORD
	v_add_f16_e32 v20, v45, v20
	v_fma_f16 v45, v26, s18, v79
	v_mul_f16_e32 v84, 0x31e1, v27
	v_add_f16_e32 v22, v45, v22
	v_fma_f16 v45, v151, s18, -v84
	v_mul_f16_e32 v91, 0x3bb2, v27
	v_add_f16_e32 v38, v45, v38
	v_fma_f16 v45, v151, s11, -v91
	v_mul_f16_e32 v101, 0x3964, v27
	v_add_f16_e32 v39, v45, v39
	v_fma_f16 v45, v151, s10, -v101
	v_mul_f16_sdwa v106, v27, s29 dst_sel:DWORD dst_unused:UNUSED_PAD src0_sel:WORD_1 src1_sel:DWORD
	v_add_f16_e32 v40, v45, v40
	v_fma_f16 v45, v26, s9, v106
	v_mul_f16_e32 v112, 0xb5c8, v27
	v_add_f16_e32 v41, v45, v41
	v_fma_f16 v45, v151, s9, -v112
	v_mul_f16_sdwa v122, v27, s4 dst_sel:DWORD dst_unused:UNUSED_PAD src0_sel:WORD_1 src1_sel:DWORD
	v_add_f16_e32 v42, v45, v42
	v_fma_f16 v45, v26, s8, v122
	v_mul_f16_e32 v131, 0xbbf7, v27
	v_add_f16_e32 v43, v45, v43
	v_fma_f16 v45, v151, s8, -v131
	v_mul_f16_sdwa v78, v29, s4 dst_sel:DWORD dst_unused:UNUSED_PAD src0_sel:WORD_1 src1_sel:DWORD
	v_add_f16_e32 v44, v45, v44
	v_fma_f16 v45, v28, s8, v78
	v_lshrrev_b32_e32 v156, 16, v28
	v_mul_f16_e32 v82, 0xb1e1, v29
	v_add_f16_e32 v19, v45, v19
	v_fma_f16 v45, v156, s18, -v82
	v_mul_f16_sdwa v85, v29, s5 dst_sel:DWORD dst_unused:UNUSED_PAD src0_sel:WORD_1 src1_sel:DWORD
	v_add_f16_e32 v20, v45, v20
	v_fma_f16 v45, v28, s11, v85
	v_mul_f16_e32 v90, 0x3bb2, v29
	v_add_f16_e32 v22, v45, v22
	v_fma_f16 v45, v156, s11, -v90
	v_mul_f16_e32 v98, 0x35c8, v29
	v_add_f16_e32 v38, v45, v38
	v_fma_f16 v45, v156, s9, -v98
	v_mul_f16_e32 v111, 0xbb29, v29
	v_add_f16_e32 v39, v45, v39
	v_fma_f16 v45, v156, s21, -v111
	v_mul_f16_sdwa v114, v29, s23 dst_sel:DWORD dst_unused:UNUSED_PAD src0_sel:WORD_1 src1_sel:DWORD
	v_add_f16_e32 v40, v45, v40
	v_fma_f16 v45, v28, s17, v114
	v_mul_f16_e32 v127, 0xb836, v29
	v_add_f16_e32 v41, v45, v41
	v_fma_f16 v45, v156, s17, -v127
	v_mul_f16_sdwa v133, v29, s30 dst_sel:DWORD dst_unused:UNUSED_PAD src0_sel:WORD_1 src1_sel:DWORD
	v_add_f16_e32 v42, v45, v42
	v_fma_f16 v45, v28, s25, v133
	v_mul_f16_e32 v147, 0x3a62, v29
	v_add_f16_e32 v43, v45, v43
	v_fma_f16 v45, v156, s25, -v147
	v_mul_f16_sdwa v83, v32, s16 dst_sel:DWORD dst_unused:UNUSED_PAD src0_sel:WORD_1 src1_sel:DWORD
	v_add_f16_e32 v44, v45, v44
	v_fma_f16 v45, v31, s11, v83
	v_lshrrev_b32_e32 v160, 16, v31
	v_mul_f16_e32 v86, 0x3836, v32
	;; [unrolled: 31-line block ×4, first 2 shown]
	v_add_f16_e32 v19, v45, v19
	v_fma_f16 v45, v165, s21, -v103
	v_mul_f16_sdwa v110, v52, s4 dst_sel:DWORD dst_unused:UNUSED_PAD src0_sel:WORD_1 src1_sel:DWORD
	v_add_f16_e32 v45, v45, v20
	v_fma_f16 v20, v51, s8, v110
	v_mul_f16_e32 v113, 0xbbf7, v52
	v_add_f16_e32 v20, v20, v22
	v_fma_f16 v22, v165, s8, -v113
	v_mul_f16_e32 v132, 0x3a62, v52
	v_add_f16_e32 v22, v22, v38
	v_fma_f16 v38, v165, s25, -v132
	;; [unrolled: 3-line block ×3, first 2 shown]
	v_mul_f16_sdwa v154, v52, s19 dst_sel:DWORD dst_unused:UNUSED_PAD src0_sel:WORD_1 src1_sel:DWORD
	v_add_f16_e32 v48, v39, v40
	v_fma_f16 v39, v51, s18, v154
	v_mul_f16_e32 v158, 0xb1e1, v52
	v_lshrrev_b32_e32 v169, 16, v56
	v_mul_f16_e32 v149, 0xb836, v57
	v_add_f16_e32 v171, v39, v41
	v_fma_f16 v39, v165, s18, -v158
	v_mul_f16_sdwa v161, v52, s20 dst_sel:DWORD dst_unused:UNUSED_PAD src0_sel:WORD_1 src1_sel:DWORD
	v_fma_f16 v41, v169, s17, -v149
	v_mul_f16_e32 v157, 0x3964, v57
	v_add_f16_e32 v49, v39, v42
	v_fma_f16 v39, v51, s10, v161
	v_mul_f16_e32 v164, 0x3964, v52
	v_add_f16_e32 v41, v41, v22
	v_fma_f16 v22, v169, s10, -v157
	v_mul_f16_e32 v163, 0xba62, v57
	v_add_f16_e32 v138, v39, v43
	v_fma_f16 v39, v165, s10, -v164
	s_mov_b32 s4, 0x3b7639e9
	v_add_f16_e32 v42, v22, v38
	v_fma_f16 v22, v169, s25, -v163
	v_mul_f16_e32 v166, 0x3b29, v57
	v_add_f16_e32 v139, v39, v44
	v_mul_f16_sdwa v104, v57, s19 dst_sel:DWORD dst_unused:UNUSED_PAD src0_sel:WORD_1 src1_sel:DWORD
	s_mov_b32 s5, 0xb964b5c8
	s_mov_b32 s29, 0xbbf7b964
	v_pk_mul_f16 v140, v14, s4
	v_add_f16_e32 v44, v22, v48
	v_fma_f16 v22, v169, s21, -v166
	v_mul_f16_sdwa v168, v57, s16 dst_sel:DWORD dst_unused:UNUSED_PAD src0_sel:WORD_1 src1_sel:DWORD
	v_fma_f16 v39, v56, s18, v104
	s_mov_b32 s28, 0x2de839e9
	s_mov_b32 s30, 0x3722b8d2
	v_pk_fma_f16 v115, v23, s5, v140 op_sel:[0,0,1] op_sel_hi:[1,1,0]
	v_pk_mul_f16 v141, v25, s29
	v_add_f16_e32 v43, v22, v49
	v_fma_f16 v22, v56, s11, v168
	v_mul_f16_e32 v170, 0xbbb2, v57
	v_add_f16_e32 v39, v39, v19
	s_mov_b32 s31, 0xba62bb29
	s_mov_b32 s33, 0x2de8bbdd
	v_pk_fma_f16 v116, v24, s28, v141
	v_add_f16_sdwa v19, v115, v0 dst_sel:DWORD dst_unused:UNUSED_PAD src0_sel:WORD_1 src1_sel:DWORD
	v_pk_mul_f16 v142, v26, s30
	v_add_f16_e32 v48, v22, v138
	v_fma_f16 v22, v169, s11, -v170
	v_pk_fma_f16 v138, v23, s5, v140 op_sel:[0,0,1] op_sel_hi:[1,1,0] neg_lo:[1,0,0] neg_hi:[1,0,0]
	s_mov_b32 s34, 0xb1e1bbf7
	s_mov_b32 s35, 0xb461bacd
	v_add_f16_sdwa v19, v116, v19 dst_sel:DWORD dst_unused:UNUSED_PAD src0_sel:WORD_1 src1_sel:DWORD
	v_pk_fma_f16 v120, v27, s31, v142 op_sel:[0,0,1] op_sel_hi:[1,1,0]
	v_pk_mul_f16 v143, v28, s33
	v_add_f16_e32 v49, v22, v139
	v_pk_fma_f16 v139, v24, s28, v141 neg_lo:[0,0,1] neg_hi:[0,0,1]
	v_add_f16_sdwa v22, v138, v0 dst_sel:DWORD dst_unused:UNUSED_PAD src0_sel:DWORD src1_sel:WORD_1
	s_mov_b32 s36, 0x3836bbb2
	s_mov_b32 s37, 0xb8d2b461
	v_add_f16_sdwa v19, v120, v19 dst_sel:DWORD dst_unused:UNUSED_PAD src0_sel:WORD_1 src1_sel:DWORD
	v_pk_fma_f16 v121, v29, s34, v143 op_sel:[0,0,1] op_sel_hi:[1,1,0]
	v_pk_mul_f16 v144, v31, s35
	v_pk_fma_f16 v140, v27, s31, v142 op_sel:[0,0,1] op_sel_hi:[1,1,0] neg_lo:[1,0,0] neg_hi:[1,0,0]
	v_add_f16_e32 v22, v139, v22
	s_mov_b32 s38, 0x3bb2ba62
	s_mov_b32 s39, 0xbacd3722
	v_add_f16_sdwa v19, v121, v19 dst_sel:DWORD dst_unused:UNUSED_PAD src0_sel:WORD_1 src1_sel:DWORD
	v_pk_fma_f16 v123, v32, s36, v144 op_sel:[0,0,1] op_sel_hi:[1,1,0]
	v_pk_mul_f16 v145, v35, s37
	v_pk_fma_f16 v141, v29, s34, v143 op_sel:[0,0,1] op_sel_hi:[1,1,0] neg_lo:[1,0,0] neg_hi:[1,0,0]
	v_add_f16_e32 v22, v140, v22
	;; [unrolled: 7-line block ×3, first 2 shown]
	s_mov_b32 s42, 0x35c8b1e1
	v_add_f16_sdwa v19, v125, v19 dst_sel:DWORD dst_unused:UNUSED_PAD src0_sel:WORD_1 src1_sel:DWORD
	v_pk_fma_f16 v126, v52, s40, v167 op_sel:[0,0,1] op_sel_hi:[1,1,0]
	v_mul_f16_sdwa v135, v57, s23 dst_sel:DWORD dst_unused:UNUSED_PAD src0_sel:WORD_1 src1_sel:DWORD
	v_pk_mul_f16 v172, v56, s41
	v_pk_fma_f16 v143, v46, s38, v145 op_sel:[0,0,1] op_sel_hi:[1,1,0] neg_lo:[1,0,0] neg_hi:[1,0,0]
	v_add_f16_e32 v22, v142, v22
	v_add_f16_sdwa v40, v126, v19 dst_sel:DWORD dst_unused:UNUSED_PAD src0_sel:WORD_1 src1_sel:DWORD
	v_fma_f16 v19, v56, s17, v135
	v_pk_fma_f16 v128, v57, s42, v172 op_sel:[0,0,1] op_sel_hi:[1,1,0]
	v_mul_f16_e32 v130, 0x35c8, v57
	v_pk_fma_f16 v144, v52, s40, v167 op_sel:[0,0,1] op_sel_hi:[1,1,0] neg_lo:[1,0,0] neg_hi:[1,0,0]
	v_add_f16_e32 v22, v143, v22
	v_add_f16_e32 v19, v19, v20
	v_add_f16_sdwa v20, v128, v40 dst_sel:DWORD dst_unused:UNUSED_PAD src0_sel:WORD_1 src1_sel:DWORD
	v_fma_f16 v40, v169, s9, -v130
	v_pk_fma_f16 v145, v57, s42, v172 op_sel:[0,0,1] op_sel_hi:[1,1,0] neg_lo:[1,0,0] neg_hi:[1,0,0]
	v_add_f16_e32 v22, v144, v22
	v_mul_f16_sdwa v167, v57, s27 dst_sel:DWORD dst_unused:UNUSED_PAD src0_sel:WORD_1 src1_sel:DWORD
	v_add_f16_e32 v40, v40, v45
	v_add_f16_e32 v45, v145, v22
	v_fma_f16 v22, v56, s21, v167
	v_add_f16_e32 v22, v22, v171
	v_mul_lo_u16_e32 v38, 17, v37
	s_barrier
	s_and_saveexec_b64 s[4:5], s[0:1]
	s_cbranch_execz .LBB0_7
; %bb.6:
	v_mul_f16_e32 v176, 0x2de8, v14
	v_mul_f16_e32 v178, 0xb461, v14
	;; [unrolled: 1-line block ×3, first 2 shown]
	v_sub_f16_e32 v30, v176, v30
	v_mul_f16_e32 v189, 0xbacd, v61
	v_mul_f16_e32 v198, 0xb461, v26
	v_sub_f16_e32 v33, v178, v33
	v_add_f16_e32 v30, v30, v0
	v_sub_f16_e32 v34, v187, v34
	v_mul_f16_e32 v200, 0x39e9, v26
	v_mul_f16_e32 v209, 0x3b76, v28
	v_add_f16_e32 v33, v33, v0
	v_sub_f16_e32 v47, v189, v47
	v_add_f16_e32 v30, v34, v30
	v_sub_f16_e32 v34, v198, v50
	v_mul_f16_e32 v211, 0x3722, v28
	v_mul_f16_e32 v220, 0x3722, v31
	v_add_f16_e32 v33, v47, v33
	v_sub_f16_e32 v47, v200, v54
	v_add_f16_e32 v30, v34, v30
	v_sub_f16_e32 v34, v209, v55
	v_mul_f16_e32 v173, 0x39e9, v136
	v_mul_f16_e32 v175, 0x3722, v136
	;; [unrolled: 1-line block ×8, first 2 shown]
	v_add_f16_e32 v33, v47, v33
	v_sub_f16_e32 v47, v211, v58
	v_add_f16_e32 v30, v34, v30
	v_sub_f16_e32 v34, v220, v59
	v_mul_f16_e32 v193, 0x3722, v24
	v_mul_f16_e32 v233, 0x2de8, v35
	;; [unrolled: 1-line block ×3, first 2 shown]
	v_add_f16_e32 v118, v118, v136
	v_add_f16_e32 v33, v47, v33
	v_sub_f16_e32 v47, v222, v60
	v_add_f16_e32 v30, v34, v30
	v_sub_f16_e32 v34, v231, v62
	v_mul_f16_e32 v244, 0x3b76, v51
	v_mul_f16_e32 v136, 0x39e9, v56
	v_add_f16_e32 v119, v119, v193
	v_add_f16_sdwa v118, v118, v0 dst_sel:DWORD dst_unused:UNUSED_PAD src0_sel:DWORD src1_sel:WORD_1
	v_add_f16_e32 v33, v47, v33
	v_sub_f16_e32 v47, v233, v63
	v_add_f16_e32 v30, v34, v30
	v_sub_f16_e32 v34, v242, v64
	v_add_f16_e32 v118, v119, v118
	v_mul_f16_e32 v119, 0xb8d2, v56
	v_add_f16_e32 v33, v47, v33
	v_sub_f16_e32 v47, v244, v67
	v_add_f16_e32 v30, v34, v30
	v_sub_f16_e32 v34, v136, v70
	v_mul_f16_e32 v186, 0xb8d2, v24
	v_add_f16_e32 v33, v47, v33
	v_sub_f16_e32 v47, v119, v76
	v_add_f16_e32 v30, v34, v30
	v_add_f16_e32 v34, v74, v175
	v_mul_f16_e32 v188, 0xbbdd, v24
	v_mul_f16_e32 v197, 0xbbdd, v151
	v_add_f16_e32 v33, v47, v33
	v_add_f16_e32 v47, v80, v177
	v_add_f16_sdwa v34, v34, v0 dst_sel:DWORD dst_unused:UNUSED_PAD src0_sel:DWORD src1_sel:WORD_1
	v_add_f16_e32 v50, v75, v186
	v_mul_f16_e32 v199, 0xb461, v151
	v_mul_f16_e32 v208, 0xb461, v156
	v_add_f16_sdwa v47, v47, v0 dst_sel:DWORD dst_unused:UNUSED_PAD src0_sel:DWORD src1_sel:WORD_1
	v_add_f16_e32 v54, v81, v188
	v_add_f16_e32 v34, v50, v34
	v_add_f16_e32 v50, v84, v197
	v_mul_f16_e32 v210, 0x3b76, v156
	v_mul_f16_e32 v219, 0x39e9, v160
	v_add_f16_e32 v47, v54, v47
	v_add_f16_e32 v54, v91, v199
	v_add_f16_e32 v34, v50, v34
	v_add_f16_e32 v50, v90, v208
	v_mul_f16_e32 v221, 0x3722, v160
	v_mul_f16_e32 v230, 0x3b76, v162
	v_add_f16_e32 v47, v54, v47
	;; [unrolled: 6-line block ×5, first 2 shown]
	v_add_f16_e32 v54, v132, v243
	v_add_f16_e32 v34, v50, v34
	;; [unrolled: 1-line block ×3, first 2 shown]
	v_alignbit_b32 v171, v0, v0, 16
	v_mul_f16_e32 v185, 0xb8d2, v61
	v_add_f16_e32 v47, v54, v47
	v_add_f16_e32 v54, v157, v193
	;; [unrolled: 1-line block ×3, first 2 shown]
	v_sub_f16_e32 v50, v174, v71
	v_alignbit_b32 v53, v53, v53, 16
	v_mul_f16_e32 v196, 0xbbdd, v26
	v_add_f16_e32 v47, v54, v47
	v_add_f16_e32 v50, v50, v0
	v_sub_f16_e32 v54, v185, v72
	v_pk_add_f16 v1, v1, v171 op_sel:[0,1] op_sel_hi:[1,0]
	v_mul_f16_e32 v207, 0xb461, v28
	v_add_f16_e32 v50, v54, v50
	v_sub_f16_e32 v54, v196, v79
	v_pk_add_f16 v1, v53, v1
	v_mul_f16_e32 v218, 0x39e9, v31
	v_add_f16_e32 v50, v54, v50
	v_sub_f16_e32 v54, v207, v85
	v_pk_add_f16 v1, v15, v1
	v_mul_f16_e32 v229, 0x3b76, v35
	v_add_f16_e32 v50, v54, v50
	v_sub_f16_e32 v54, v218, v92
	v_pk_add_f16 v1, v12, v1
	v_mul_f16_e32 v240, 0x2de8, v51
	v_add_f16_e32 v50, v54, v50
	v_sub_f16_e32 v54, v229, v99
	v_pk_add_f16 v1, v13, v1
	v_mul_f16_e32 v251, 0xbacd, v56
	v_add_f16_e32 v50, v54, v50
	v_sub_f16_e32 v54, v240, v110
	v_pk_add_f16 v1, v2, v1
	v_add_f16_e32 v50, v54, v50
	v_sub_f16_e32 v54, v251, v135
	v_pk_add_f16 v1, v3, v1
	v_mul_f16_e32 v184, 0x2de8, v24
	v_add_f16_e32 v50, v54, v50
	v_add_f16_e32 v54, v68, v173
	v_pk_add_f16 v1, v4, v1
	v_mul_f16_e32 v195, 0xb8d2, v151
	v_add_f16_sdwa v54, v54, v0 dst_sel:DWORD dst_unused:UNUSED_PAD src0_sel:DWORD src1_sel:WORD_1
	v_add_f16_e32 v55, v69, v184
	v_pk_add_f16 v1, v5, v1
	v_mul_f16_e32 v206, 0xbbdd, v156
	v_add_f16_e32 v54, v55, v54
	v_add_f16_e32 v55, v77, v195
	v_pk_add_f16 v1, v6, v1
	v_mul_f16_e32 v217, 0xbacd, v160
	v_add_f16_e32 v54, v55, v54
	;; [unrolled: 4-line block ×5, first 2 shown]
	v_add_f16_e32 v55, v103, v239
	v_pk_add_f16 v1, v10, v1
	v_mul_f16_e32 v172, 0x3b76, v14
	v_mul_f16_e32 v180, 0xb8d2, v14
	;; [unrolled: 1-line block ×3, first 2 shown]
	v_add_f16_e32 v54, v55, v54
	v_add_f16_e32 v55, v130, v250
	s_mov_b32 s28, 0xffff
	v_pk_add_f16 v1, v11, v1
	v_mul_f16_e32 v183, 0x39e9, v61
	v_sub_f16_e32 v107, v182, v107
	v_add_f16_e32 v100, v100, v181
	v_sub_f16_e32 v93, v180, v93
	v_add_f16_e32 v88, v88, v179
	v_add_f16_e32 v54, v55, v54
	v_bfi_b32 v55, s28, v115, v138
	v_sub_f16_e32 v65, v172, v65
	v_lshlrev_b32_e32 v12, 2, v38
	v_pk_add_f16 v1, v21, v1
	v_mul_f16_e32 v194, 0x3722, v26
	v_add_f16_e32 v107, v107, v0
	v_add_f16_sdwa v100, v100, v0 dst_sel:DWORD dst_unused:UNUSED_PAD src0_sel:DWORD src1_sel:WORD_1
	v_add_f16_e32 v93, v93, v0
	v_add_f16_sdwa v88, v88, v0 dst_sel:DWORD dst_unused:UNUSED_PAD src0_sel:DWORD src1_sel:WORD_1
	v_bfi_b32 v58, s28, v116, v139
	v_add_f16_e32 v0, v65, v0
	v_sub_f16_e32 v65, v183, v66
	ds_write_b32 v12, v1
	v_pk_add_f16 v1, v55, v171
	v_mul_f16_e32 v190, 0xbacd, v24
	v_mul_f16_e32 v191, 0xb461, v61
	;; [unrolled: 1-line block ×4, first 2 shown]
	v_bfi_b32 v59, s28, v120, v140
	v_add_f16_e32 v0, v65, v0
	v_sub_f16_e32 v65, v194, v73
	v_pk_add_f16 v1, v58, v1
	v_mul_f16_e32 v201, 0x39e9, v151
	v_mul_f16_e32 v202, 0x3b76, v26
	;; [unrolled: 1-line block ×4, first 2 shown]
	v_add_f16_e32 v102, v102, v192
	v_sub_f16_e32 v94, v191, v94
	v_add_f16_e32 v89, v89, v190
	v_bfi_b32 v60, s28, v121, v141
	v_add_f16_e32 v0, v65, v0
	v_sub_f16_e32 v65, v205, v78
	v_pk_add_f16 v1, v59, v1
	v_mul_f16_e32 v212, 0x3722, v156
	v_mul_f16_e32 v213, 0xbacd, v28
	;; [unrolled: 1-line block ×4, first 2 shown]
	v_add_f16_e32 v100, v102, v100
	v_add_f16_e32 v102, v112, v203
	;; [unrolled: 1-line block ×3, first 2 shown]
	v_sub_f16_e32 v94, v202, v106
	v_add_f16_e32 v88, v89, v88
	v_add_f16_e32 v89, v101, v201
	v_bfi_b32 v62, s28, v123, v142
	v_add_f16_e32 v0, v65, v0
	v_sub_f16_e32 v65, v216, v83
	v_pk_add_f16 v1, v60, v1
	v_mul_f16_e32 v223, 0xbbdd, v160
	v_mul_f16_e32 v224, 0x2de8, v31
	;; [unrolled: 1-line block ×4, first 2 shown]
	v_add_f16_e32 v100, v102, v100
	v_add_f16_e32 v102, v127, v214
	;; [unrolled: 1-line block ×3, first 2 shown]
	v_sub_f16_e32 v94, v213, v114
	v_add_f16_e32 v88, v89, v88
	v_add_f16_e32 v89, v111, v212
	v_bfi_b32 v63, s28, v125, v143
	v_add_f16_e32 v0, v65, v0
	v_sub_f16_e32 v65, v227, v87
	v_pk_add_f16 v1, v62, v1
	v_mul_f16_e32 v151, 0x2de8, v151
	v_mul_f16_e32 v234, 0x2de8, v162
	;; [unrolled: 1-line block ×5, first 2 shown]
	v_add_f16_e32 v100, v102, v100
	v_add_f16_e32 v102, v137, v225
	;; [unrolled: 1-line block ×3, first 2 shown]
	v_sub_f16_e32 v94, v224, v129
	v_add_f16_e32 v88, v89, v88
	v_add_f16_e32 v89, v124, v223
	v_bfi_b32 v64, s28, v126, v144
	v_add_f16_e32 v0, v65, v0
	v_sub_f16_e32 v65, v238, v96
	v_pk_add_f16 v1, v63, v1
	v_mul_f16_e32 v156, 0xb8d2, v156
	v_mul_f16_e32 v245, 0x3b76, v165
	;; [unrolled: 1-line block ×4, first 2 shown]
	v_add_f16_e32 v131, v131, v151
	v_add_f16_e32 v100, v102, v100
	v_add_f16_e32 v102, v152, v236
	v_add_f16_e32 v93, v94, v93
	v_sub_f16_e32 v94, v235, v146
	v_add_f16_e32 v88, v89, v88
	v_add_f16_e32 v89, v134, v234
	v_bfi_b32 v67, s28, v128, v145
	v_add_f16_e32 v0, v65, v0
	v_sub_f16_e32 v65, v249, v104
	v_pk_add_f16 v1, v64, v1
	v_mul_f16_e32 v151, 0xb8d2, v169
	v_add_f16_e32 v118, v131, v118
	v_mul_f16_e32 v131, 0x3722, v56
	v_add_f16_e32 v147, v147, v156
	;; [unrolled: 2-line block ×3, first 2 shown]
	v_add_f16_e32 v102, v158, v247
	v_add_f16_e32 v93, v94, v93
	v_sub_f16_e32 v94, v246, v154
	v_add_f16_e32 v88, v89, v88
	v_add_f16_e32 v89, v150, v245
	;; [unrolled: 1-line block ×3, first 2 shown]
	v_pk_add_f16 v1, v67, v1
	v_add_f16_e32 v100, v102, v100
	v_add_f16_e32 v102, v166, v156
	;; [unrolled: 1-line block ×3, first 2 shown]
	v_sub_f16_e32 v94, v131, v167
	v_add_f16_e32 v88, v89, v88
	v_add_f16_e32 v89, v163, v151
	v_alignbit_b32 v2, v54, v1, 16
	v_pack_b32_f16 v0, v0, v1
	v_add_f16_e32 v100, v102, v100
	v_add_f16_e32 v93, v94, v93
	;; [unrolled: 1-line block ×3, first 2 shown]
	ds_write2_b32 v12, v0, v2 offset0:1 offset1:2
	v_pack_b32_f16 v0, v30, v47
	v_pack_b32_f16 v1, v50, v34
	ds_write2_b32 v12, v1, v0 offset0:3 offset1:4
	v_pack_b32_f16 v0, v93, v100
	v_pack_b32_f16 v1, v33, v88
	ds_write2_b32 v12, v1, v0 offset0:5 offset1:6
	v_pk_mul_f16 v0, v23, s19 op_sel_hi:[1,0]
	v_pk_fma_f16 v1, v14, s18, v0 op_sel:[0,0,1] op_sel_hi:[1,0,0] neg_lo:[0,0,1] neg_hi:[0,0,1]
	v_pk_fma_f16 v0, v14, s18, v0 op_sel:[0,0,1] op_sel_hi:[1,0,0]
	v_pk_mul_f16 v3, v25, s22 op_sel_hi:[1,0]
	v_bfi_b32 v2, s28, v1, v0
	v_pk_fma_f16 v4, v24, s9, v3 op_sel_hi:[1,0,1] neg_lo:[0,0,1] neg_hi:[0,0,1]
	v_pk_fma_f16 v3, v24, s9, v3 op_sel_hi:[1,0,1]
	v_pk_add_f16 v2, v2, v171 op_sel:[0,1] op_sel_hi:[1,0]
	v_alignbit_b32 v5, v3, v4, 16
	v_pk_add_f16 v2, v5, v2
	v_pk_mul_f16 v5, v27, s23 op_sel_hi:[1,0]
	v_pk_fma_f16 v6, v26, s17, v5 op_sel:[0,0,1] op_sel_hi:[1,0,0] neg_lo:[0,0,1] neg_hi:[0,0,1]
	v_pk_fma_f16 v5, v26, s17, v5 op_sel:[0,0,1] op_sel_hi:[1,0,0]
	v_bfi_b32 v7, s28, v6, v5
	v_pk_add_f16 v2, v7, v2
	v_pk_mul_f16 v7, v29, s20 op_sel_hi:[1,0]
	v_pk_fma_f16 v8, v28, s10, v7 op_sel:[0,0,1] op_sel_hi:[1,0,0] neg_lo:[0,0,1] neg_hi:[0,0,1]
	v_pk_fma_f16 v7, v28, s10, v7 op_sel:[0,0,1] op_sel_hi:[1,0,0]
	v_bfi_b32 v9, s28, v8, v7
	;; [unrolled: 5-line block ×4, first 2 shown]
	v_bfi_b32 v14, s28, v13, v11
	v_pk_add_f16 v0, v0, v171 op_sel:[0,1] op_sel_hi:[1,0]
	v_alignbit_b32 v1, v4, v3, 16
	v_mul_f16_e32 v61, 0x3722, v61
	v_pk_add_f16 v2, v14, v2
	v_pk_mul_f16 v14, v52, s16 op_sel_hi:[1,0]
	v_pk_add_f16 v0, v1, v0
	v_bfi_b32 v1, s28, v5, v6
	v_mul_f16_e32 v204, 0x2de8, v26
	v_sub_f16_e32 v61, v61, v109
	v_pk_fma_f16 v15, v51, s11, v14 op_sel:[0,0,1] op_sel_hi:[1,0,0] neg_lo:[0,0,1] neg_hi:[0,0,1]
	v_pk_fma_f16 v14, v51, s11, v14 op_sel:[0,0,1] op_sel_hi:[1,0,0]
	v_pk_add_f16 v0, v1, v0
	v_bfi_b32 v1, s28, v7, v8
	v_mul_f16_e32 v215, 0xb8d2, v28
	v_add_f16_e32 v61, v61, v107
	v_sub_f16_e32 v107, v204, v122
	v_bfi_b32 v21, s28, v15, v14
	v_pk_add_f16 v0, v1, v0
	v_bfi_b32 v1, s28, v9, v10
	v_mul_f16_e32 v226, 0x3b76, v31
	v_mul_f16_e32 v160, 0x3b76, v160
	v_add_f16_e32 v61, v107, v61
	v_sub_f16_e32 v107, v215, v133
	v_pk_add_f16 v2, v21, v2
	v_pk_mul_f16 v21, v57, s24 op_sel_hi:[1,0]
	v_pk_add_f16 v0, v1, v0
	v_bfi_b32 v1, s28, v11, v13
	v_mul_f16_e32 v237, 0xbbdd, v35
	v_mul_f16_e32 v162, 0xbbdd, v162
	v_add_f16_e32 v118, v147, v118
	v_add_f16_e32 v153, v153, v160
	;; [unrolled: 1-line block ×3, first 2 shown]
	v_sub_f16_e32 v107, v226, v148
	v_pk_fma_f16 v23, v56, s8, v21 op_sel:[0,0,1] op_sel_hi:[1,0,0] neg_lo:[0,0,1] neg_hi:[0,0,1]
	v_pk_fma_f16 v21, v56, s8, v21 op_sel:[0,0,1] op_sel_hi:[1,0,0]
	v_pk_add_f16 v0, v1, v0
	v_bfi_b32 v1, s28, v14, v15
	v_mul_f16_e32 v248, 0x39e9, v51
	v_mul_f16_e32 v165, 0x39e9, v165
	v_add_f16_e32 v118, v153, v118
	v_add_f16_e32 v153, v159, v162
	;; [unrolled: 1-line block ×3, first 2 shown]
	v_sub_f16_e32 v107, v237, v155
	v_pk_add_f16 v0, v1, v0
	v_bfi_b32 v1, s28, v21, v23
	s_mov_b32 s8, 0x5040100
	v_mul_f16_e32 v147, 0xb461, v56
	v_mul_f16_e32 v169, 0xb461, v169
	v_add_f16_e32 v118, v153, v118
	v_add_f16_e32 v153, v164, v165
	;; [unrolled: 1-line block ×3, first 2 shown]
	v_sub_f16_e32 v107, v248, v161
	v_pk_add_f16 v0, v1, v0
	v_perm_b32 v1, v49, v48, s8
	v_add_f16_e32 v118, v153, v118
	v_add_f16_e32 v153, v170, v169
	v_add_f16_e32 v61, v107, v61
	v_sub_f16_e32 v107, v147, v168
	ds_write2_b32 v12, v0, v1 offset0:9 offset1:10
	v_perm_b32 v0, v44, v17, s8
	v_perm_b32 v1, v43, v22, s8
	v_add_f16_e32 v118, v153, v118
	v_add_f16_e32 v61, v107, v61
	v_bfi_b32 v24, s28, v23, v21
	ds_write2_b32 v12, v1, v0 offset0:11 offset1:12
	v_perm_b32 v0, v41, v19, s8
	v_perm_b32 v1, v42, v18, s8
	v_pk_add_f16 v2, v24, v2
	v_pack_b32_f16 v24, v61, v118
	ds_write2_b32 v12, v1, v0 offset0:13 offset1:14
	v_perm_b32 v0, v45, v39, s8
	v_perm_b32 v1, v40, v20, s8
	ds_write2_b32 v12, v24, v2 offset0:7 offset1:8
	ds_write2_b32 v12, v1, v0 offset0:15 offset1:16
.LBB0_7:
	s_or_b64 exec, exec, s[4:5]
	s_load_dwordx4 s[8:11], s[2:3], 0x0
	s_movk_i32 s2, 0xf1
	v_mul_lo_u16_sdwa v0, v37, s2 dst_sel:DWORD dst_unused:UNUSED_PAD src0_sel:BYTE_0 src1_sel:DWORD
	v_lshrrev_b16_e32 v47, 12, v0
	v_mul_lo_u16_e32 v0, 17, v47
	v_sub_u16_e32 v0, v37, v0
	v_and_b32_e32 v58, 0xff, v0
	v_mad_u64_u32 v[8:9], s[2:3], v58, 36, s[14:15]
	s_waitcnt lgkmcnt(0)
	s_barrier
	global_load_dwordx4 v[0:3], v[8:9], off
	global_load_dwordx4 v[4:7], v[8:9], off offset:16
	global_load_dword v46, v[8:9], off offset:32
	v_add_u32_e32 v10, 0x500, v36
	v_add_u32_e32 v12, 0xb00, v36
	;; [unrolled: 1-line block ×3, first 2 shown]
	ds_read2_b32 v[8:9], v36 offset1:187
	v_add_u32_e32 v21, 0x1700, v36
	ds_read2_b32 v[10:11], v10 offset0:54 offset1:241
	ds_read2_b32 v[12:13], v12 offset0:44 offset1:231
	;; [unrolled: 1-line block ×4, first 2 shown]
	s_movk_i32 s2, 0x3b9c
	s_waitcnt lgkmcnt(3)
	v_lshrrev_b32_e32 v26, 16, v10
	s_waitcnt lgkmcnt(2)
	v_lshrrev_b32_e32 v28, 16, v12
	;; [unrolled: 2-line block ×4, first 2 shown]
	v_lshrrev_b32_e32 v25, 16, v9
	v_lshrrev_b32_e32 v27, 16, v11
	s_mov_b32 s5, 0xbb9c
	v_lshrrev_b32_e32 v21, 16, v8
	s_movk_i32 s3, 0x38b4
	s_mov_b32 s16, 0xb8b4
	s_movk_i32 s4, 0x34f2
	v_lshrrev_b32_e32 v29, 16, v13
	v_lshrrev_b32_e32 v31, 16, v15
	;; [unrolled: 1-line block ×3, first 2 shown]
	s_movk_i32 s17, 0x3a79
	s_waitcnt vmcnt(0)
	s_barrier
	v_mul_f16_sdwa v50, v26, v1 dst_sel:DWORD dst_unused:UNUSED_PAD src0_sel:DWORD src1_sel:WORD_1
	v_mul_f16_sdwa v54, v28, v3 dst_sel:DWORD dst_unused:UNUSED_PAD src0_sel:DWORD src1_sel:WORD_1
	;; [unrolled: 1-line block ×9, first 2 shown]
	v_fma_f16 v10, v10, v1, -v50
	v_fma_f16 v12, v12, v3, -v54
	;; [unrolled: 1-line block ×4, first 2 shown]
	v_mul_f16_sdwa v34, v25, v0 dst_sel:DWORD dst_unused:UNUSED_PAD src0_sel:DWORD src1_sel:WORD_1
	v_fma_f16 v25, v25, v0, v35
	v_fma_f16 v28, v28, v3, v55
	v_fma_f16 v30, v30, v5, v60
	v_add_f16_e32 v35, v12, v14
	v_add_f16_e32 v54, v10, v23
	v_mul_f16_sdwa v52, v27, v2 dst_sel:DWORD dst_unused:UNUSED_PAD src0_sel:DWORD src1_sel:WORD_1
	v_mul_f16_sdwa v53, v11, v2 dst_sel:DWORD dst_unused:UNUSED_PAD src0_sel:DWORD src1_sel:WORD_1
	v_fma_f16 v9, v9, v0, -v34
	v_fma_f16 v26, v26, v1, v51
	v_fma_f16 v32, v32, v7, v64
	v_add_f16_e32 v34, v8, v10
	v_sub_f16_e32 v51, v28, v30
	v_fma_f16 v35, v35, -0.5, v8
	v_fma_f16 v8, v54, -0.5, v8
	v_fma_f16 v11, v11, v2, -v52
	v_fma_f16 v27, v27, v2, v53
	v_sub_f16_e32 v50, v26, v32
	v_sub_f16_e32 v52, v10, v12
	;; [unrolled: 1-line block ×3, first 2 shown]
	v_fma_f16 v54, v51, s5, v8
	v_fma_f16 v8, v51, s2, v8
	v_add_f16_e32 v52, v52, v53
	v_fma_f16 v53, v50, s2, v35
	v_fma_f16 v35, v50, s5, v35
	;; [unrolled: 1-line block ×4, first 2 shown]
	v_add_f16_e32 v50, v21, v26
	v_fma_f16 v53, v51, s3, v53
	v_fma_f16 v35, v51, s16, v35
	v_add_f16_e32 v50, v50, v28
	v_sub_f16_e32 v55, v12, v10
	v_fma_f16 v53, v52, s4, v53
	v_fma_f16 v35, v52, s4, v35
	v_sub_f16_e32 v52, v14, v23
	v_add_f16_e32 v50, v50, v30
	v_add_f16_e32 v34, v34, v12
	;; [unrolled: 1-line block ×6, first 2 shown]
	v_fma_f16 v50, v50, -0.5, v21
	v_sub_f16_e32 v10, v10, v23
	v_add_f16_e32 v34, v34, v23
	v_fma_f16 v23, v10, s5, v50
	v_sub_f16_e32 v12, v12, v14
	v_fma_f16 v14, v12, s16, v23
	v_sub_f16_e32 v23, v26, v28
	v_sub_f16_e32 v51, v32, v30
	v_fma_f16 v50, v10, s2, v50
	v_add_f16_e32 v23, v23, v51
	v_fma_f16 v50, v12, s3, v50
	v_fma_f16 v14, v23, s4, v14
	;; [unrolled: 1-line block ×3, first 2 shown]
	v_add_f16_e32 v50, v26, v32
	v_mul_f16_sdwa v56, v29, v4 dst_sel:DWORD dst_unused:UNUSED_PAD src0_sel:DWORD src1_sel:WORD_1
	v_mul_f16_sdwa v61, v31, v6 dst_sel:DWORD dst_unused:UNUSED_PAD src0_sel:DWORD src1_sel:WORD_1
	v_fma_f16 v21, v50, -0.5, v21
	v_mul_f16_sdwa v57, v13, v4 dst_sel:DWORD dst_unused:UNUSED_PAD src0_sel:DWORD src1_sel:WORD_1
	v_mul_f16_sdwa v62, v15, v6 dst_sel:DWORD dst_unused:UNUSED_PAD src0_sel:DWORD src1_sel:WORD_1
	;; [unrolled: 1-line block ×3, first 2 shown]
	v_fma_f16 v13, v13, v4, -v56
	v_fma_f16 v15, v15, v6, -v61
	v_fma_f16 v50, v12, s2, v21
	v_sub_f16_e32 v26, v28, v26
	v_sub_f16_e32 v28, v30, v32
	v_fma_f16 v12, v12, s5, v21
	v_mul_f16_sdwa v65, v33, v46 dst_sel:DWORD dst_unused:UNUSED_PAD src0_sel:DWORD src1_sel:WORD_1
	v_fma_f16 v33, v33, v46, v66
	v_fma_f16 v50, v10, s16, v50
	v_add_f16_e32 v26, v26, v28
	v_fma_f16 v10, v10, s3, v12
	v_add_f16_e32 v21, v13, v15
	v_fma_f16 v29, v29, v4, v57
	v_fma_f16 v31, v31, v6, v62
	v_fma_f16 v24, v24, v46, -v65
	v_fma_f16 v56, v26, s4, v50
	v_fma_f16 v10, v26, s4, v10
	v_fma_f16 v21, v21, -0.5, v9
	v_sub_f16_e32 v26, v27, v33
	v_fma_f16 v28, v26, s2, v21
	v_sub_f16_e32 v30, v29, v31
	v_sub_f16_e32 v32, v11, v13
	;; [unrolled: 1-line block ×3, first 2 shown]
	v_fma_f16 v21, v26, s5, v21
	v_fma_f16 v28, v30, s3, v28
	v_add_f16_e32 v32, v32, v50
	v_fma_f16 v21, v30, s16, v21
	v_fma_f16 v50, v32, s4, v28
	;; [unrolled: 1-line block ×3, first 2 shown]
	v_add_f16_e32 v21, v11, v24
	v_add_f16_e32 v12, v9, v11
	v_fma_f16 v9, v21, -0.5, v9
	v_fma_f16 v21, v30, s5, v9
	v_sub_f16_e32 v28, v13, v11
	v_sub_f16_e32 v51, v15, v24
	v_fma_f16 v21, v26, s3, v21
	v_add_f16_e32 v28, v28, v51
	v_fma_f16 v51, v28, s4, v21
	v_add_f16_e32 v21, v25, v27
	v_add_f16_e32 v21, v21, v29
	;; [unrolled: 1-line block ×7, first 2 shown]
	v_fma_f16 v21, v21, -0.5, v25
	v_sub_f16_e32 v11, v11, v24
	v_add_f16_e32 v12, v12, v24
	v_fma_f16 v9, v30, s2, v9
	v_fma_f16 v24, v11, s5, v21
	v_sub_f16_e32 v13, v13, v15
	v_fma_f16 v9, v26, s16, v9
	v_fma_f16 v15, v13, s16, v24
	v_sub_f16_e32 v24, v27, v29
	v_sub_f16_e32 v26, v33, v31
	v_fma_f16 v21, v11, s2, v21
	v_add_f16_e32 v24, v24, v26
	v_fma_f16 v21, v13, s3, v21
	v_fma_f16 v15, v24, s4, v15
	;; [unrolled: 1-line block ×3, first 2 shown]
	v_add_f16_e32 v21, v27, v33
	v_fma_f16 v21, v21, -0.5, v25
	v_fma_f16 v25, v13, s2, v21
	v_sub_f16_e32 v26, v29, v27
	v_sub_f16_e32 v27, v31, v33
	v_fma_f16 v25, v11, s16, v25
	v_add_f16_e32 v26, v26, v27
	v_fma_f16 v31, v26, s4, v25
	v_fma_f16 v13, v13, s5, v21
	v_fma_f16 v9, v28, s4, v9
	v_fma_f16 v11, v11, s3, v13
	v_mul_f16_e32 v21, 0x3b9c, v31
	v_fma_f16 v11, v26, s4, v11
	v_mul_f16_e32 v13, 0x38b4, v15
	v_fma_f16 v33, v51, s4, v21
	v_mul_f16_e32 v21, 0x34f2, v9
	v_mul_f16_e32 v25, 0xb8b4, v50
	v_fma_f16 v8, v52, s4, v8
	v_fma_f16 v13, v50, s17, v13
	v_fma_f16 v59, v11, s2, -v21
	v_mul_f16_e32 v21, 0x3a79, v32
	v_fma_f16 v15, v15, s17, v25
	v_mul_f16_e32 v50, 0xbb9c, v51
	v_mul_f16_e32 v11, 0x34f2, v11
	v_fma_f16 v54, v52, s4, v54
	v_add_f16_e32 v26, v34, v12
	v_add_f16_e32 v27, v53, v13
	v_add_f16_e32 v29, v8, v59
	v_fma_f16 v60, v24, s3, -v21
	v_add_f16_e32 v21, v55, v57
	v_add_f16_e32 v25, v14, v15
	v_fma_f16 v61, v31, s4, v50
	v_fma_f16 v9, v9, s5, -v11
	v_mul_f16_e32 v11, 0x3a79, v24
	v_sub_f16_e32 v31, v34, v12
	v_sub_f16_e32 v34, v8, v59
	v_mul_u32_u24_e32 v8, 0xaa, v47
	v_add_f16_e32 v28, v54, v33
	v_add_f16_e32 v50, v56, v61
	;; [unrolled: 1-line block ×3, first 2 shown]
	v_fma_f16 v11, v32, s16, -v11
	v_sub_f16_e32 v32, v53, v13
	v_sub_f16_e32 v53, v55, v57
	;; [unrolled: 1-line block ×3, first 2 shown]
	v_add_lshl_u32 v47, v8, v58, 2
	v_pack_b32_f16 v8, v26, v21
	v_pack_b32_f16 v9, v27, v25
	v_add_f16_e32 v30, v35, v60
	v_add_f16_e32 v52, v23, v11
	ds_write2_b32 v47, v8, v9 offset1:17
	v_pack_b32_f16 v8, v28, v50
	v_pack_b32_f16 v9, v29, v51
	v_sub_f16_e32 v33, v54, v33
	v_sub_f16_e32 v57, v14, v15
	;; [unrolled: 1-line block ×3, first 2 shown]
	ds_write2_b32 v47, v8, v9 offset0:34 offset1:51
	v_pack_b32_f16 v8, v30, v52
	v_pack_b32_f16 v9, v31, v53
	v_sub_f16_e32 v35, v35, v60
	v_sub_f16_e32 v54, v23, v11
	s_movk_i32 s2, 0xaa
	ds_write2_b32 v47, v8, v9 offset0:68 offset1:85
	v_pack_b32_f16 v8, v32, v57
	v_pack_b32_f16 v9, v33, v56
	ds_write2_b32 v47, v8, v9 offset0:102 offset1:119
	v_pack_b32_f16 v8, v34, v55
	v_pack_b32_f16 v9, v35, v54
	v_cmp_gt_u16_e64 s[2:3], s2, v37
	ds_write2_b32 v47, v8, v9 offset0:136 offset1:153
	s_waitcnt lgkmcnt(0)
	s_barrier
	s_and_saveexec_b64 s[4:5], s[2:3]
	s_cbranch_execz .LBB0_9
; %bb.8:
	v_add_u32_e32 v8, 0x400, v36
	ds_read2_b32 v[28:29], v8 offset0:84 offset1:254
	v_add_u32_e32 v8, 0xa00, v36
	ds_read2_b32 v[30:31], v8 offset0:40 offset1:210
	;; [unrolled: 2-line block ×3, first 2 shown]
	v_add_u32_e32 v8, 0x1400, v36
	ds_read2_b32 v[26:27], v36 offset1:170
	ds_read2_b32 v[34:35], v8 offset0:80 offset1:250
	ds_read_b32 v48, v36 offset:6800
	s_waitcnt lgkmcnt(5)
	v_lshrrev_b32_e32 v50, 16, v28
	v_lshrrev_b32_e32 v51, 16, v29
	s_waitcnt lgkmcnt(2)
	v_lshrrev_b32_e32 v21, 16, v26
	v_lshrrev_b32_e32 v25, 16, v27
	;; [unrolled: 1-line block ×6, first 2 shown]
	s_waitcnt lgkmcnt(1)
	v_lshrrev_b32_e32 v55, 16, v34
	v_lshrrev_b32_e32 v54, 16, v35
	s_waitcnt lgkmcnt(0)
	v_lshrrev_b32_e32 v49, 16, v48
.LBB0_9:
	s_or_b64 exec, exec, s[4:5]
	v_add_u32_e32 v8, 0xffffff56, v37
	v_cndmask_b32_e64 v8, v8, v37, s[2:3]
	v_mul_hi_i32_i24_e32 v9, 40, v8
	v_mul_i32_i24_e32 v8, 40, v8
	v_mov_b32_e32 v10, s15
	v_add_co_u32_e32 v58, vcc, s14, v8
	v_addc_co_u32_e32 v59, vcc, v10, v9, vcc
	global_load_dwordx4 v[8:11], v[58:59], off offset:612
	global_load_dwordx4 v[12:15], v[58:59], off offset:628
	global_load_dwordx2 v[23:24], v[58:59], off offset:644
	s_movk_i32 s5, 0x3abb
	s_movk_i32 s4, 0x36a6
	s_mov_b32 s14, 0xb08e
	s_mov_b32 s15, 0xb93d
	;; [unrolled: 1-line block ×3, first 2 shown]
	s_waitcnt vmcnt(2)
	v_mul_f16_sdwa v58, v25, v8 dst_sel:DWORD dst_unused:UNUSED_PAD src0_sel:DWORD src1_sel:WORD_1
	v_mul_f16_sdwa v59, v27, v8 dst_sel:DWORD dst_unused:UNUSED_PAD src0_sel:DWORD src1_sel:WORD_1
	;; [unrolled: 1-line block ×4, first 2 shown]
	s_waitcnt vmcnt(0)
	v_mul_f16_sdwa v74, v54, v23 dst_sel:DWORD dst_unused:UNUSED_PAD src0_sel:DWORD src1_sel:WORD_1
	v_mul_f16_sdwa v76, v49, v24 dst_sel:DWORD dst_unused:UNUSED_PAD src0_sel:DWORD src1_sel:WORD_1
	;; [unrolled: 1-line block ×3, first 2 shown]
	v_fma_f16 v27, v27, v8, -v58
	v_fma_f16 v25, v25, v8, v59
	v_mul_f16_sdwa v62, v51, v10 dst_sel:DWORD dst_unused:UNUSED_PAD src0_sel:DWORD src1_sel:WORD_1
	v_mul_f16_sdwa v63, v29, v10 dst_sel:DWORD dst_unused:UNUSED_PAD src0_sel:DWORD src1_sel:WORD_1
	;; [unrolled: 1-line block ×3, first 2 shown]
	v_fma_f16 v28, v28, v9, -v60
	v_fma_f16 v50, v50, v9, v61
	v_fma_f16 v58, v35, v23, -v74
	v_fma_f16 v35, v48, v24, -v76
	v_fma_f16 v48, v49, v24, v77
	v_add_f16_e32 v49, v26, v27
	v_add_f16_e32 v59, v21, v25
	v_mul_f16_sdwa v64, v52, v11 dst_sel:DWORD dst_unused:UNUSED_PAD src0_sel:DWORD src1_sel:WORD_1
	v_mul_f16_sdwa v65, v30, v11 dst_sel:DWORD dst_unused:UNUSED_PAD src0_sel:DWORD src1_sel:WORD_1
	v_fma_f16 v29, v29, v10, -v62
	v_fma_f16 v51, v51, v10, v63
	v_add_f16_e32 v61, v25, v48
	v_sub_f16_e32 v62, v25, v48
	v_add_f16_e32 v25, v49, v28
	v_add_f16_e32 v49, v59, v50
	v_mul_f16_sdwa v66, v53, v12 dst_sel:DWORD dst_unused:UNUSED_PAD src0_sel:DWORD src1_sel:WORD_1
	v_mul_f16_sdwa v67, v31, v12 dst_sel:DWORD dst_unused:UNUSED_PAD src0_sel:DWORD src1_sel:WORD_1
	v_fma_f16 v30, v30, v11, -v64
	v_fma_f16 v52, v52, v11, v65
	v_add_f16_e32 v25, v25, v29
	v_add_f16_e32 v49, v49, v51
	v_mul_f16_sdwa v68, v57, v13 dst_sel:DWORD dst_unused:UNUSED_PAD src0_sel:DWORD src1_sel:WORD_1
	v_mul_f16_sdwa v69, v32, v13 dst_sel:DWORD dst_unused:UNUSED_PAD src0_sel:DWORD src1_sel:WORD_1
	v_fma_f16 v31, v31, v12, -v66
	v_fma_f16 v53, v53, v12, v67
	;; [unrolled: 6-line block ×4, first 2 shown]
	v_add_f16_e32 v25, v25, v32
	v_add_f16_e32 v49, v49, v57
	v_fma_f16 v34, v34, v15, -v72
	v_fma_f16 v55, v55, v15, v73
	v_add_f16_e32 v25, v25, v33
	v_add_f16_e32 v49, v49, v56
	v_fma_f16 v54, v54, v23, v75
	v_add_f16_e32 v25, v25, v34
	v_add_f16_e32 v49, v49, v55
	;; [unrolled: 1-line block ×3, first 2 shown]
	v_sub_f16_e32 v27, v27, v35
	v_add_f16_e32 v25, v25, v58
	v_add_f16_e32 v49, v49, v54
	v_mul_f16_e32 v59, 0xb853, v62
	v_mul_f16_e32 v64, 0xbb47, v62
	;; [unrolled: 1-line block ×3, first 2 shown]
	v_add_f16_e32 v25, v25, v35
	v_add_f16_e32 v35, v49, v48
	v_mul_f16_e32 v49, 0xbbeb, v62
	v_mul_f16_e32 v72, 0xba0c, v62
	;; [unrolled: 1-line block ×4, first 2 shown]
	v_fma_f16 v66, v60, s5, -v59
	v_fma_f16 v59, v60, s5, v59
	v_fma_f16 v68, v60, s4, -v64
	v_fma_f16 v69, v61, s4, v65
	v_fma_f16 v64, v60, s4, v64
	v_fma_f16 v48, v61, s4, -v65
	v_fma_f16 v65, v60, s14, -v49
	v_mul_f16_e32 v70, 0xbbeb, v27
	v_fma_f16 v49, v60, s14, v49
	v_fma_f16 v73, v60, s15, -v72
	v_mul_f16_e32 v74, 0xba0c, v27
	v_fma_f16 v72, v60, s15, v72
	;; [unrolled: 3-line block ×3, first 2 shown]
	v_fma_f16 v67, v61, s5, v63
	v_fma_f16 v63, v61, s5, -v63
	v_add_f16_e32 v66, v26, v66
	v_add_f16_e32 v59, v26, v59
	;; [unrolled: 1-line block ×5, first 2 shown]
	v_fma_f16 v71, v61, s14, v70
	v_add_f16_e32 v49, v26, v49
	v_fma_f16 v70, v61, s14, -v70
	v_add_f16_e32 v73, v26, v73
	v_fma_f16 v75, v61, s15, v74
	v_add_f16_e32 v72, v26, v72
	v_fma_f16 v74, v61, s15, -v74
	v_add_f16_e32 v76, v26, v76
	;; [unrolled: 4-line block ×3, first 2 shown]
	v_sub_f16_e32 v50, v50, v54
	v_add_f16_e32 v67, v21, v67
	v_add_f16_e32 v63, v21, v63
	;; [unrolled: 1-line block ×11, first 2 shown]
	v_sub_f16_e32 v28, v28, v58
	v_mul_f16_e32 v54, 0xbb47, v50
	v_fma_f16 v58, v27, s4, -v54
	v_mul_f16_e32 v61, 0xbb47, v28
	v_fma_f16 v54, v27, s4, v54
	v_fma_f16 v62, v60, s4, v61
	v_add_f16_e32 v54, v54, v59
	v_fma_f16 v59, v60, s4, -v61
	v_mul_f16_e32 v61, 0xba0c, v50
	v_add_f16_e32 v58, v58, v66
	v_add_f16_e32 v59, v59, v63
	v_fma_f16 v63, v27, s15, -v61
	v_mul_f16_e32 v66, 0xba0c, v28
	v_fma_f16 v61, v27, s15, v61
	v_add_f16_e32 v61, v61, v64
	v_fma_f16 v64, v60, s15, -v66
	v_add_f16_e32 v48, v64, v48
	v_mul_f16_e32 v64, 0x3482, v50
	v_add_f16_e32 v62, v62, v67
	v_fma_f16 v67, v60, s15, v66
	v_fma_f16 v66, v27, s16, -v64
	v_add_f16_e32 v65, v66, v65
	v_mul_f16_e32 v66, 0x3482, v28
	v_fma_f16 v64, v27, s16, v64
	v_add_f16_e32 v63, v63, v68
	v_fma_f16 v68, v60, s16, v66
	v_add_f16_e32 v49, v64, v49
	v_fma_f16 v64, v60, s16, -v66
	v_mul_f16_e32 v66, 0x3beb, v50
	v_add_f16_e32 v67, v67, v69
	v_fma_f16 v69, v27, s14, -v66
	v_fma_f16 v66, v27, s14, v66
	v_mul_f16_e32 v50, 0x3853, v50
	v_add_f16_e32 v64, v64, v70
	v_mul_f16_e32 v70, 0x3beb, v28
	v_add_f16_e32 v66, v66, v72
	v_fma_f16 v72, v27, s5, -v50
	v_mul_f16_e32 v28, 0x3853, v28
	v_fma_f16 v27, v27, s5, v50
	v_add_f16_e32 v26, v27, v26
	v_fma_f16 v27, v60, s5, -v28
	v_add_f16_e32 v21, v27, v21
	v_add_f16_e32 v27, v29, v34
	v_sub_f16_e32 v29, v29, v34
	v_sub_f16_e32 v34, v51, v55
	v_mul_f16_e32 v50, 0xbbeb, v34
	v_add_f16_e32 v69, v69, v73
	v_fma_f16 v73, v60, s5, v28
	v_add_f16_e32 v28, v51, v55
	v_fma_f16 v51, v27, s14, -v50
	v_mul_f16_e32 v55, 0xbbeb, v29
	v_add_f16_e32 v68, v68, v71
	v_fma_f16 v71, v60, s14, v70
	v_fma_f16 v70, v60, s14, -v70
	v_add_f16_e32 v51, v51, v58
	v_fma_f16 v58, v28, s14, v55
	v_fma_f16 v50, v27, s14, v50
	v_mul_f16_e32 v60, 0x3482, v29
	v_add_f16_e32 v58, v58, v62
	v_add_f16_e32 v50, v50, v54
	v_fma_f16 v54, v28, s14, -v55
	v_mul_f16_e32 v55, 0x3482, v34
	v_fma_f16 v62, v28, s16, v60
	v_fma_f16 v60, v28, s16, -v60
	v_add_f16_e32 v54, v54, v59
	v_fma_f16 v59, v27, s16, -v55
	v_fma_f16 v55, v27, s16, v55
	v_add_f16_e32 v48, v60, v48
	v_mul_f16_e32 v60, 0x3b47, v34
	v_add_f16_e32 v59, v59, v63
	v_add_f16_e32 v55, v55, v61
	v_fma_f16 v61, v27, s4, -v60
	v_mul_f16_e32 v63, 0x3b47, v29
	v_fma_f16 v60, v27, s4, v60
	v_add_f16_e32 v61, v61, v65
	v_fma_f16 v65, v28, s4, v63
	v_add_f16_e32 v49, v60, v49
	v_fma_f16 v60, v28, s4, -v63
	v_mul_f16_e32 v63, 0xb853, v34
	v_add_f16_e32 v62, v62, v67
	v_add_f16_e32 v60, v60, v64
	v_fma_f16 v64, v27, s5, -v63
	v_mul_f16_e32 v67, 0xb853, v29
	v_fma_f16 v63, v27, s5, v63
	v_mul_f16_e32 v34, 0xba0c, v34
	v_add_f16_e32 v65, v65, v68
	v_fma_f16 v68, v28, s5, v67
	v_add_f16_e32 v63, v63, v66
	v_fma_f16 v66, v28, s5, -v67
	v_fma_f16 v67, v27, s15, -v34
	v_mul_f16_e32 v29, 0xba0c, v29
	v_fma_f16 v27, v27, s15, v34
	v_add_f16_e32 v26, v27, v26
	v_fma_f16 v27, v28, s15, -v29
	v_add_f16_e32 v64, v64, v69
	v_fma_f16 v69, v28, s15, v29
	v_add_f16_e32 v21, v27, v21
	v_add_f16_e32 v27, v30, v33
	v_sub_f16_e32 v29, v30, v33
	v_sub_f16_e32 v30, v52, v56
	v_mul_f16_e32 v33, 0xba0c, v30
	v_fma_f16 v34, v27, s15, -v33
	v_add_f16_e32 v28, v52, v56
	v_add_f16_e32 v34, v34, v51
	v_mul_f16_e32 v51, 0xba0c, v29
	v_fma_f16 v33, v27, s15, v33
	v_fma_f16 v52, v28, s15, v51
	v_add_f16_e32 v33, v33, v50
	v_fma_f16 v50, v28, s15, -v51
	v_mul_f16_e32 v51, 0x3beb, v30
	v_add_f16_e32 v50, v50, v54
	v_fma_f16 v54, v27, s14, -v51
	v_mul_f16_e32 v56, 0x3beb, v29
	v_fma_f16 v51, v27, s14, v51
	v_add_f16_e32 v55, v51, v55
	v_fma_f16 v51, v28, s14, -v56
	v_add_f16_e32 v52, v52, v58
	v_fma_f16 v58, v28, s14, v56
	v_add_f16_e32 v56, v51, v48
	v_mul_f16_e32 v48, 0xb853, v30
	v_fma_f16 v51, v27, s5, -v48
	v_add_f16_e32 v54, v54, v59
	v_add_f16_e32 v59, v51, v61
	v_mul_f16_e32 v51, 0xb853, v29
	v_fma_f16 v48, v27, s5, v48
	v_add_f16_e32 v58, v58, v62
	v_add_f16_e32 v62, v48, v49
	v_fma_f16 v48, v28, s5, -v51
	v_add_f16_e32 v60, v48, v60
	v_mul_f16_e32 v48, 0xb482, v30
	v_fma_f16 v49, v27, s16, -v48
	v_add_f16_e32 v70, v70, v74
	v_add_f16_e32 v64, v49, v64
	v_mul_f16_e32 v49, 0xb482, v29
	v_fma_f16 v48, v27, s16, v48
	v_add_f16_e32 v72, v72, v76
	v_add_f16_e32 v66, v66, v70
	;; [unrolled: 1-line block ×3, first 2 shown]
	v_fma_f16 v48, v28, s16, -v49
	v_mul_f16_e32 v30, 0x3b47, v30
	v_add_f16_e32 v71, v71, v75
	v_add_f16_e32 v73, v73, v77
	;; [unrolled: 1-line block ×4, first 2 shown]
	v_fma_f16 v48, v27, s4, -v30
	v_mul_f16_e32 v29, 0x3b47, v29
	v_add_f16_e32 v68, v68, v71
	v_add_f16_e32 v69, v69, v73
	v_fma_f16 v61, v28, s5, v51
	v_fma_f16 v51, v28, s16, v49
	v_add_f16_e32 v67, v48, v67
	v_fma_f16 v48, v28, s4, v29
	v_fma_f16 v27, v27, s4, v30
	v_sub_f16_e32 v73, v31, v32
	v_add_f16_e32 v61, v61, v65
	v_add_f16_e32 v65, v51, v68
	;; [unrolled: 1-line block ×5, first 2 shown]
	v_mul_f16_e32 v27, 0xb482, v73
	v_fma_f16 v26, v28, s4, -v29
	v_sub_f16_e32 v30, v53, v57
	v_fma_f16 v28, v72, s16, v27
	v_add_f16_e32 v70, v26, v21
	v_add_f16_e32 v71, v31, v32
	v_mul_f16_e32 v21, 0xb482, v30
	v_add_f16_e32 v48, v28, v52
	v_fma_f16 v27, v72, s16, -v27
	v_mul_f16_e32 v28, 0x3853, v30
	v_fma_f16 v26, v71, s16, -v21
	v_fma_f16 v21, v71, s16, v21
	v_add_f16_e32 v51, v27, v50
	v_fma_f16 v27, v71, s5, -v28
	v_mul_f16_e32 v29, 0x3853, v73
	v_fma_f16 v28, v71, s5, v28
	v_add_f16_e32 v21, v21, v33
	v_fma_f16 v31, v72, s5, v29
	v_add_f16_e32 v32, v28, v55
	v_fma_f16 v28, v72, s5, -v29
	v_mul_f16_e32 v29, 0xba0c, v30
	v_mul_f16_e32 v33, 0xba0c, v73
	v_add_f16_e32 v49, v31, v58
	v_add_f16_e32 v53, v28, v56
	v_fma_f16 v28, v71, s15, -v29
	v_fma_f16 v31, v72, s15, v33
	v_fma_f16 v29, v71, s15, v29
	v_add_f16_e32 v27, v27, v54
	v_add_f16_e32 v50, v31, v61
	;; [unrolled: 1-line block ×3, first 2 shown]
	v_fma_f16 v29, v72, s15, -v33
	v_mul_f16_e32 v33, 0x3b47, v30
	v_mul_f16_e32 v54, 0x3b47, v73
	v_add_f16_e32 v26, v26, v34
	v_add_f16_e32 v55, v29, v60
	v_fma_f16 v29, v71, s4, -v33
	v_fma_f16 v34, v72, s4, v54
	v_fma_f16 v33, v71, s4, v33
	v_add_f16_e32 v52, v34, v65
	v_add_f16_e32 v34, v33, v63
	v_fma_f16 v33, v72, s4, -v54
	v_add_f16_e32 v57, v33, v66
	v_mul_f16_e32 v33, 0xbbeb, v30
	v_mul_f16_e32 v56, 0xbbeb, v73
	v_fma_f16 v30, v71, s14, -v33
	v_fma_f16 v54, v72, s14, v56
	v_fma_f16 v33, v71, s14, v33
	v_fma_f16 v56, v72, s14, -v56
	v_add_f16_e32 v28, v28, v59
	v_add_f16_e32 v29, v29, v64
	;; [unrolled: 1-line block ×6, first 2 shown]
	s_and_saveexec_b64 s[4:5], s[2:3]
	s_cbranch_execz .LBB0_11
; %bb.10:
	s_mov_b32 s14, 0x5040100
	v_perm_b32 v56, v35, v25, s14
	v_perm_b32 v58, v48, v26, s14
	ds_write2_b32 v36, v56, v58 offset1:170
	v_perm_b32 v56, v49, v27, s14
	v_perm_b32 v58, v50, v28, s14
	v_add_u32_e32 v60, 0x400, v36
	ds_write2_b32 v60, v56, v58 offset0:84 offset1:254
	v_perm_b32 v56, v52, v29, s14
	v_perm_b32 v58, v54, v30, s14
	v_add_u32_e32 v60, 0xa00, v36
	ds_write2_b32 v60, v56, v58 offset0:40 offset1:210
	;; [unrolled: 4-line block ×4, first 2 shown]
	v_perm_b32 v56, v51, v21, s14
	ds_write_b32 v36, v56 offset:6800
.LBB0_11:
	s_or_b64 exec, exec, s[4:5]
	s_waitcnt lgkmcnt(0)
	s_barrier
	s_and_saveexec_b64 s[4:5], s[0:1]
	s_cbranch_execz .LBB0_13
; %bb.12:
	v_mov_b32_e32 v56, s7
	v_add_co_u32_e32 v58, vcc, s6, v36
	v_addc_co_u32_e32 v56, vcc, 0, v56, vcc
	v_add_co_u32_e32 v60, vcc, 0x1d38, v58
	v_addc_co_u32_e32 v61, vcc, 0, v56, vcc
	;; [unrolled: 2-line block ×3, first 2 shown]
	global_load_dword v66, v[62:63], off offset:3384
	global_load_dword v68, v[60:61], off offset:440
	;; [unrolled: 1-line block ×9, first 2 shown]
	s_movk_i32 s14, 0x2000
	v_add_co_u32_e32 v62, vcc, s14, v58
	s_movk_i32 s15, 0x3000
	v_addc_co_u32_e32 v63, vcc, 0, v56, vcc
	v_add_co_u32_e32 v64, vcc, s15, v58
	v_addc_co_u32_e32 v65, vcc, 0, v56, vcc
	global_load_dword v56, v[62:63], off offset:3688
	global_load_dword v58, v[64:65], off offset:32
	;; [unrolled: 1-line block ×8, first 2 shown]
	ds_read_b32 v60, v36
	v_add_u32_e32 v81, 0x400, v36
	v_add_u32_e32 v82, 0x800, v36
	v_add_u32_e32 v83, 0xc00, v36
	s_waitcnt lgkmcnt(0)
	v_lshrrev_b32_e32 v61, 16, v60
	s_waitcnt vmcnt(16)
	v_mul_f16_sdwa v62, v61, v66 dst_sel:DWORD dst_unused:UNUSED_PAD src0_sel:DWORD src1_sel:WORD_1
	v_mul_f16_sdwa v63, v60, v66 dst_sel:DWORD dst_unused:UNUSED_PAD src0_sel:DWORD src1_sel:WORD_1
	v_fma_f16 v60, v60, v66, -v62
	v_fma_f16 v61, v61, v66, v63
	v_pack_b32_f16 v60, v60, v61
	ds_write_b32 v36, v60
	ds_read2_b32 v[60:61], v36 offset0:110 offset1:220
	ds_read2_b32 v[62:63], v81 offset0:74 offset1:184
	;; [unrolled: 1-line block ×4, first 2 shown]
	s_waitcnt lgkmcnt(2)
	v_lshrrev_b32_e32 v89, 16, v62
	v_lshrrev_b32_e32 v85, 16, v60
	s_waitcnt vmcnt(15)
	v_mul_f16_sdwa v86, v60, v68 dst_sel:DWORD dst_unused:UNUSED_PAD src0_sel:DWORD src1_sel:WORD_1
	v_lshrrev_b32_e32 v87, 16, v61
	s_waitcnt vmcnt(14)
	v_mul_f16_sdwa v88, v61, v69 dst_sel:DWORD dst_unused:UNUSED_PAD src0_sel:DWORD src1_sel:WORD_1
	s_waitcnt vmcnt(13)
	v_mul_f16_sdwa v90, v62, v70 dst_sel:DWORD dst_unused:UNUSED_PAD src0_sel:DWORD src1_sel:WORD_1
	v_lshrrev_b32_e32 v91, 16, v63
	s_waitcnt vmcnt(12)
	v_mul_f16_sdwa v92, v63, v71 dst_sel:DWORD dst_unused:UNUSED_PAD src0_sel:DWORD src1_sel:WORD_1
	s_waitcnt lgkmcnt(1)
	v_lshrrev_b32_e32 v93, 16, v64
	s_waitcnt vmcnt(11)
	v_mul_f16_sdwa v94, v64, v72 dst_sel:DWORD dst_unused:UNUSED_PAD src0_sel:DWORD src1_sel:WORD_1
	v_lshrrev_b32_e32 v95, 16, v65
	v_mul_f16_sdwa v98, v85, v68 dst_sel:DWORD dst_unused:UNUSED_PAD src0_sel:DWORD src1_sel:WORD_1
	v_fma_f16 v85, v85, v68, v86
	v_mul_f16_sdwa v86, v87, v69 dst_sel:DWORD dst_unused:UNUSED_PAD src0_sel:DWORD src1_sel:WORD_1
	s_waitcnt vmcnt(10)
	v_mul_f16_sdwa v96, v65, v73 dst_sel:DWORD dst_unused:UNUSED_PAD src0_sel:DWORD src1_sel:WORD_1
	v_fma_f16 v87, v87, v69, v88
	v_mul_f16_sdwa v88, v89, v70 dst_sel:DWORD dst_unused:UNUSED_PAD src0_sel:DWORD src1_sel:WORD_1
	v_fma_f16 v89, v89, v70, v90
	;; [unrolled: 2-line block ×4, first 2 shown]
	v_mul_f16_sdwa v94, v95, v73 dst_sel:DWORD dst_unused:UNUSED_PAD src0_sel:DWORD src1_sel:WORD_1
	v_fma_f16 v60, v60, v68, -v98
	v_fma_f16 v61, v61, v69, -v86
	s_waitcnt lgkmcnt(0)
	v_lshrrev_b32_e32 v97, 16, v66
	v_fma_f16 v95, v95, v73, v96
	v_fma_f16 v62, v62, v70, -v88
	v_fma_f16 v63, v63, v71, -v90
	;; [unrolled: 1-line block ×4, first 2 shown]
	v_pack_b32_f16 v60, v60, v85
	v_pack_b32_f16 v61, v61, v87
	s_waitcnt vmcnt(9)
	v_mul_f16_sdwa v96, v97, v74 dst_sel:DWORD dst_unused:UNUSED_PAD src0_sel:DWORD src1_sel:WORD_1
	v_pack_b32_f16 v62, v62, v89
	v_pack_b32_f16 v63, v63, v91
	;; [unrolled: 1-line block ×4, first 2 shown]
	ds_write2_b32 v36, v60, v61 offset0:110 offset1:220
	ds_write2_b32 v81, v62, v63 offset0:74 offset1:184
	ds_write2_b32 v82, v64, v65 offset0:38 offset1:148
	v_mul_f16_sdwa v61, v66, v74 dst_sel:DWORD dst_unused:UNUSED_PAD src0_sel:DWORD src1_sel:WORD_1
	v_fma_f16 v60, v66, v74, -v96
	v_fma_f16 v61, v97, v74, v61
	v_lshrrev_b32_e32 v63, 16, v67
	v_pack_b32_f16 v62, v60, v61
	s_waitcnt vmcnt(8)
	v_mul_f16_sdwa v60, v63, v75 dst_sel:DWORD dst_unused:UNUSED_PAD src0_sel:DWORD src1_sel:WORD_1
	v_add_u32_e32 v65, 0xe00, v36
	v_fma_f16 v64, v67, v75, -v60
	ds_read2_b32 v[60:61], v65 offset0:94 offset1:204
	v_mul_f16_sdwa v66, v67, v75 dst_sel:DWORD dst_unused:UNUSED_PAD src0_sel:DWORD src1_sel:WORD_1
	v_fma_f16 v63, v63, v75, v66
	v_pack_b32_f16 v63, v64, v63
	ds_write2_b32 v83, v62, v63 offset0:2 offset1:112
	s_waitcnt lgkmcnt(1)
	v_lshrrev_b32_e32 v62, 16, v60
	s_waitcnt vmcnt(1)
	v_mul_f16_sdwa v63, v62, v80 dst_sel:DWORD dst_unused:UNUSED_PAD src0_sel:DWORD src1_sel:WORD_1
	v_fma_f16 v63, v60, v80, -v63
	v_mul_f16_sdwa v60, v60, v80 dst_sel:DWORD dst_unused:UNUSED_PAD src0_sel:DWORD src1_sel:WORD_1
	v_lshrrev_b32_e32 v64, 16, v61
	v_fma_f16 v60, v62, v80, v60
	v_mul_f16_sdwa v62, v64, v56 dst_sel:DWORD dst_unused:UNUSED_PAD src0_sel:DWORD src1_sel:WORD_1
	v_add_u32_e32 v67, 0x1200, v36
	v_pack_b32_f16 v60, v63, v60
	v_fma_f16 v66, v61, v56, -v62
	ds_read2_b32 v[62:63], v67 offset0:58 offset1:168
	v_mul_f16_sdwa v61, v61, v56 dst_sel:DWORD dst_unused:UNUSED_PAD src0_sel:DWORD src1_sel:WORD_1
	v_fma_f16 v56, v64, v56, v61
	v_pack_b32_f16 v56, v66, v56
	ds_write2_b32 v65, v60, v56 offset0:94 offset1:204
	s_waitcnt lgkmcnt(1)
	v_lshrrev_b32_e32 v56, 16, v62
	v_mul_f16_sdwa v60, v56, v58 dst_sel:DWORD dst_unused:UNUSED_PAD src0_sel:DWORD src1_sel:WORD_1
	v_mul_f16_sdwa v61, v62, v58 dst_sel:DWORD dst_unused:UNUSED_PAD src0_sel:DWORD src1_sel:WORD_1
	v_fma_f16 v60, v62, v58, -v60
	v_fma_f16 v56, v56, v58, v61
	v_lshrrev_b32_e32 v58, 16, v63
	v_pack_b32_f16 v56, v60, v56
	v_mul_f16_sdwa v60, v58, v76 dst_sel:DWORD dst_unused:UNUSED_PAD src0_sel:DWORD src1_sel:WORD_1
	v_add_u32_e32 v64, 0x1600, v36
	v_fma_f16 v62, v63, v76, -v60
	ds_read2_b32 v[60:61], v64 offset0:22 offset1:132
	v_mul_f16_sdwa v63, v63, v76 dst_sel:DWORD dst_unused:UNUSED_PAD src0_sel:DWORD src1_sel:WORD_1
	v_fma_f16 v58, v58, v76, v63
	v_pack_b32_f16 v58, v62, v58
	ds_write2_b32 v67, v56, v58 offset0:58 offset1:168
	s_waitcnt lgkmcnt(1)
	v_lshrrev_b32_e32 v56, 16, v60
	v_mul_f16_sdwa v58, v56, v77 dst_sel:DWORD dst_unused:UNUSED_PAD src0_sel:DWORD src1_sel:WORD_1
	v_fma_f16 v58, v60, v77, -v58
	v_mul_f16_sdwa v60, v60, v77 dst_sel:DWORD dst_unused:UNUSED_PAD src0_sel:DWORD src1_sel:WORD_1
	v_fma_f16 v56, v56, v77, v60
	v_add_u32_e32 v65, 0x1800, v36
	v_pack_b32_f16 v56, v58, v56
	v_lshrrev_b32_e32 v58, 16, v61
	ds_read2_b32 v[62:63], v65 offset0:114 offset1:224
	v_mul_f16_sdwa v60, v58, v78 dst_sel:DWORD dst_unused:UNUSED_PAD src0_sel:DWORD src1_sel:WORD_1
	v_fma_f16 v60, v61, v78, -v60
	v_mul_f16_sdwa v61, v61, v78 dst_sel:DWORD dst_unused:UNUSED_PAD src0_sel:DWORD src1_sel:WORD_1
	v_fma_f16 v58, v58, v78, v61
	v_pack_b32_f16 v58, v60, v58
	ds_write2_b32 v64, v56, v58 offset0:22 offset1:132
	s_waitcnt lgkmcnt(1)
	v_lshrrev_b32_e32 v56, 16, v62
	v_mul_f16_sdwa v58, v56, v79 dst_sel:DWORD dst_unused:UNUSED_PAD src0_sel:DWORD src1_sel:WORD_1
	v_mul_f16_sdwa v60, v62, v79 dst_sel:DWORD dst_unused:UNUSED_PAD src0_sel:DWORD src1_sel:WORD_1
	v_fma_f16 v58, v62, v79, -v58
	v_fma_f16 v56, v56, v79, v60
	v_pack_b32_f16 v56, v58, v56
	v_lshrrev_b32_e32 v58, 16, v63
	s_waitcnt vmcnt(0)
	v_mul_f16_sdwa v60, v58, v84 dst_sel:DWORD dst_unused:UNUSED_PAD src0_sel:DWORD src1_sel:WORD_1
	v_mul_f16_sdwa v61, v63, v84 dst_sel:DWORD dst_unused:UNUSED_PAD src0_sel:DWORD src1_sel:WORD_1
	v_fma_f16 v60, v63, v84, -v60
	v_fma_f16 v58, v58, v84, v61
	v_pack_b32_f16 v58, v60, v58
	ds_write2_b32 v65, v56, v58 offset0:114 offset1:224
.LBB0_13:
	s_or_b64 exec, exec, s[4:5]
	s_waitcnt lgkmcnt(0)
	s_barrier
	s_and_saveexec_b64 s[4:5], s[0:1]
	s_cbranch_execz .LBB0_15
; %bb.14:
	v_add_u32_e32 v17, 0x200, v36
	ds_read2_b32 v[27:28], v17 offset0:92 offset1:202
	v_add_u32_e32 v17, 0x600, v36
	ds_read2_b32 v[29:30], v17 offset0:56 offset1:166
	;; [unrolled: 2-line block ×5, first 2 shown]
	v_add_u32_e32 v17, 0x1400, v36
	v_add_u32_e32 v19, 0x1800, v36
	ds_read2_b32 v[25:26], v36 offset1:110
	ds_read2_b32 v[17:18], v17 offset0:40 offset1:150
	ds_read2_b32 v[19:20], v19 offset0:4 offset1:114
	ds_read_b32 v39, v36 offset:7040
	s_waitcnt lgkmcnt(8)
	v_lshrrev_b32_e32 v49, 16, v27
	s_waitcnt lgkmcnt(3)
	v_lshrrev_b32_e32 v35, 16, v25
	v_lshrrev_b32_e32 v48, 16, v26
	;; [unrolled: 1-line block ×11, first 2 shown]
	s_waitcnt lgkmcnt(2)
	v_lshrrev_b32_e32 v44, 16, v17
	v_lshrrev_b32_e32 v42, 16, v18
	s_waitcnt lgkmcnt(1)
	v_lshrrev_b32_e32 v41, 16, v19
	v_lshrrev_b32_e32 v40, 16, v20
	s_waitcnt lgkmcnt(0)
	v_lshrrev_b32_e32 v45, 16, v39
.LBB0_15:
	s_or_b64 exec, exec, s[4:5]
	v_sub_f16_e32 v81, v48, v45
	v_add_f16_e32 v60, v39, v26
	v_add_f16_e32 v84, v45, v48
	s_mov_b32 s14, 0xbacd
	v_mul_f16_e32 v79, 0xb836, v81
	v_sub_f16_e32 v82, v49, v40
	v_sub_f16_e32 v62, v26, v39
	s_mov_b32 s15, 0xb836
	v_mul_f16_e32 v78, 0xbacd, v84
	v_fma_f16 v56, v60, s14, -v79
	v_add_f16_e32 v61, v20, v27
	v_add_f16_e32 v86, v40, v49
	s_movk_i32 s16, 0x3722
	v_mul_f16_e32 v80, 0x3b29, v82
	v_add_f16_e32 v56, v25, v56
	v_fma_f16 v58, v62, s15, v78
	v_sub_f16_e32 v64, v27, v20
	s_movk_i32 s22, 0x3b29
	v_mul_f16_e32 v98, 0x3722, v86
	v_fma_f16 v63, v61, s16, -v80
	v_add_f16_e32 v58, v35, v58
	v_add_f16_e32 v56, v63, v56
	v_fma_f16 v63, v64, s22, v98
	v_sub_f16_e32 v83, v50, v41
	v_add_f16_e32 v58, v63, v58
	v_add_f16_e32 v63, v19, v28
	;; [unrolled: 1-line block ×3, first 2 shown]
	s_movk_i32 s17, 0x2de8
	v_mul_f16_e32 v97, 0xbbf7, v83
	v_sub_f16_e32 v66, v28, v19
	s_mov_b32 s19, 0xbbf7
	v_mul_f16_e32 v100, 0x2de8, v88
	v_fma_f16 v65, v63, s17, -v97
	v_add_f16_e32 v56, v65, v56
	v_fma_f16 v65, v66, s19, v100
	v_sub_f16_e32 v85, v52, v42
	v_add_f16_e32 v58, v65, v58
	v_add_f16_e32 v65, v18, v29
	v_add_f16_e32 v90, v42, v52
	s_mov_b32 s18, 0xb8d2
	v_mul_f16_e32 v99, 0x3a62, v85
	v_sub_f16_e32 v68, v29, v18
	s_movk_i32 s28, 0x3a62
	v_mul_f16_e32 v102, 0xb8d2, v90
	v_fma_f16 v67, v65, s18, -v99
	v_add_f16_e32 v56, v67, v56
	v_fma_f16 v67, v68, s28, v102
	v_sub_f16_e32 v87, v54, v44
	v_add_f16_e32 v58, v67, v58
	v_add_f16_e32 v67, v17, v30
	;; [unrolled: 1-line block ×3, first 2 shown]
	s_movk_i32 s21, 0x3b76
	v_mul_f16_e32 v101, 0xb5c8, v87
	v_sub_f16_e32 v70, v30, v17
	s_mov_b32 s24, 0xb5c8
	v_mul_f16_e32 v104, 0x3b76, v92
	v_fma_f16 v69, v67, s21, -v101
	v_add_f16_e32 v56, v69, v56
	v_fma_f16 v69, v70, s24, v104
	v_sub_f16_e32 v89, v59, v43
	v_add_f16_e32 v58, v69, v58
	v_add_f16_e32 v69, v22, v33
	;; [unrolled: 1-line block ×3, first 2 shown]
	s_mov_b32 s20, 0xbbdd
	v_mul_f16_e32 v103, 0xb1e1, v89
	v_sub_f16_e32 v72, v33, v22
	s_mov_b32 s23, 0xb1e1
	v_mul_f16_e32 v106, 0xbbdd, v94
	v_fma_f16 v71, v69, s20, -v103
	v_add_f16_e32 v56, v71, v56
	v_fma_f16 v71, v72, s23, v106
	v_sub_f16_e32 v91, v57, v51
	v_add_f16_e32 v58, v71, v58
	v_add_f16_e32 v71, v21, v34
	;; [unrolled: 1-line block ×3, first 2 shown]
	s_movk_i32 s25, 0x39e9
	v_mul_f16_e32 v105, 0x3964, v91
	v_sub_f16_e32 v74, v34, v21
	s_movk_i32 s30, 0x3964
	v_mul_f16_e32 v108, 0x39e9, v95
	v_fma_f16 v73, v71, s25, -v105
	v_add_f16_e32 v56, v73, v56
	v_fma_f16 v73, v74, s30, v108
	v_sub_f16_e32 v93, v55, v53
	v_add_f16_e32 v58, v73, v58
	v_add_f16_e32 v73, v32, v31
	;; [unrolled: 1-line block ×3, first 2 shown]
	s_mov_b32 s26, 0xb461
	v_mul_f16_e32 v107, 0xbbb2, v93
	v_sub_f16_e32 v75, v31, v32
	s_mov_b32 s27, 0xbbb2
	v_mul_f16_e32 v109, 0xb461, v96
	v_fma_f16 v76, v73, s26, -v107
	v_add_f16_e32 v56, v76, v56
	v_fma_f16 v76, v75, s27, v109
	v_add_f16_e32 v58, v76, v58
	s_barrier
	s_and_saveexec_b64 s[4:5], s[0:1]
	s_cbranch_execz .LBB0_17
; %bb.16:
	v_mul_f16_e32 v110, 0xbacd, v60
	v_mul_f16_e32 v111, 0xb836, v62
	;; [unrolled: 1-line block ×4, first 2 shown]
	v_sub_f16_e32 v78, v78, v111
	v_add_f16_e32 v79, v110, v79
	v_mul_f16_e32 v114, 0x2de8, v63
	v_mul_f16_e32 v115, 0xbbf7, v66
	v_add_f16_e32 v78, v35, v78
	v_sub_f16_e32 v98, v98, v113
	v_add_f16_e32 v79, v25, v79
	v_add_f16_e32 v80, v112, v80
	v_mul_f16_e32 v116, 0xb8d2, v65
	v_mul_f16_e32 v117, 0x3a62, v68
	v_add_f16_e32 v78, v98, v78
	v_sub_f16_e32 v98, v100, v115
	v_add_f16_e32 v79, v80, v79
	;; [unrolled: 6-line block ×6, first 2 shown]
	v_add_f16_e32 v80, v122, v105
	v_add_f16_e32 v78, v98, v78
	v_sub_f16_e32 v98, v109, v125
	v_add_f16_e32 v79, v80, v79
	v_add_f16_e32 v80, v124, v107
	v_mul_f16_e32 v97, 0xb8d2, v84
	v_add_f16_e32 v78, v98, v78
	v_add_f16_e32 v79, v80, v79
	v_fma_f16 v80, v62, s28, v97
	v_mul_f16_e32 v98, 0xb461, v86
	v_add_f16_e32 v80, v35, v80
	v_fma_f16 v99, v64, s27, v98
	s_movk_i32 s36, 0x35c8
	v_add_f16_e32 v80, v99, v80
	v_mul_f16_e32 v99, 0x3b76, v88
	v_fma_f16 v100, v66, s36, v99
	s_movk_i32 s33, 0x3836
	v_add_f16_e32 v80, v100, v80
	v_mul_f16_e32 v100, 0xbacd, v90
	v_fma_f16 v101, v68, s33, v100
	v_add_f16_e32 v80, v101, v80
	v_mul_f16_e32 v101, 0x2de8, v92
	v_fma_f16 v102, v70, s19, v101
	;; [unrolled: 3-line block ×3, first 2 shown]
	s_movk_i32 s37, 0x31e1
	v_add_f16_e32 v80, v103, v80
	v_mul_f16_e32 v103, 0xbbdd, v95
	v_fma_f16 v104, v74, s37, v103
	s_mov_b32 s31, 0xbb29
	v_add_f16_e32 v80, v104, v80
	v_mul_f16_e32 v104, 0x3722, v96
	v_fma_f16 v105, v75, s31, v104
	v_add_f16_e32 v80, v105, v80
	v_mul_f16_e32 v105, 0xba62, v81
	v_fma_f16 v106, v60, s18, v105
	v_mul_f16_e32 v107, 0x3bb2, v82
	v_add_f16_e32 v106, v25, v106
	v_fma_f16 v108, v61, s26, v107
	v_add_f16_e32 v106, v108, v106
	v_mul_f16_e32 v108, 0xb5c8, v83
	v_fma_f16 v109, v63, s21, v108
	v_add_f16_e32 v106, v109, v106
	v_mul_f16_e32 v109, 0xb836, v85
	;; [unrolled: 3-line block ×3, first 2 shown]
	v_fma_f16 v111, v67, s17, v110
	v_mul_f16_e32 v126, 0xbbdd, v84
	v_add_f16_e32 v106, v111, v106
	v_mul_f16_e32 v111, 0xb964, v89
	v_fma_f16 v76, v62, s37, v126
	v_mul_f16_e32 v127, 0x3b76, v86
	v_fma_f16 v112, v69, s25, v111
	v_add_f16_e32 v76, v35, v76
	v_fma_f16 v77, v64, s24, v127
	v_mul_f16_e32 v128, 0xbacd, v88
	v_add_f16_e32 v106, v112, v106
	v_mul_f16_e32 v112, 0xb1e1, v91
	v_add_f16_e32 v76, v77, v76
	v_fma_f16 v77, v66, s33, v128
	v_mul_f16_e32 v129, 0x39e9, v90
	s_mov_b32 s29, 0xb964
	v_fma_f16 v113, v71, s20, v112
	v_add_f16_e32 v76, v77, v76
	v_fma_f16 v77, v68, s29, v129
	v_mul_f16_e32 v130, 0xb8d2, v92
	v_add_f16_e32 v106, v113, v106
	v_mul_f16_e32 v113, 0x3b29, v93
	v_add_f16_e32 v76, v77, v76
	v_fma_f16 v77, v70, s28, v130
	v_mul_f16_e32 v131, 0x3722, v94
	v_fma_f16 v114, v73, s16, v113
	v_add_f16_e32 v76, v77, v76
	v_fma_f16 v77, v72, s31, v131
	v_mul_f16_e32 v132, 0xb461, v95
	s_movk_i32 s35, 0x3bb2
	v_add_f16_e32 v106, v114, v106
	v_mul_f16_e32 v114, 0xb461, v84
	v_add_f16_e32 v76, v77, v76
	v_fma_f16 v77, v74, s35, v132
	v_mul_f16_e32 v133, 0x2de8, v96
	v_fma_f16 v115, v62, s35, v114
	v_mul_f16_e32 v116, 0xbacd, v86
	v_add_f16_e32 v76, v77, v76
	v_fma_f16 v77, v75, s19, v133
	v_mul_f16_e32 v134, 0xb1e1, v81
	v_add_f16_e32 v115, v35, v115
	v_fma_f16 v117, v64, s15, v116
	v_add_f16_e32 v76, v77, v76
	v_fma_f16 v77, v60, s20, v134
	v_mul_f16_e32 v135, 0x35c8, v82
	v_add_f16_e32 v115, v117, v115
	v_mul_f16_e32 v117, 0x39e9, v88
	v_add_f16_e32 v77, v25, v77
	v_fma_f16 v136, v61, s21, v135
	v_fma_f16 v118, v66, s29, v117
	v_add_f16_e32 v77, v136, v77
	v_mul_f16_e32 v136, 0xb836, v83
	v_add_f16_e32 v115, v118, v115
	v_mul_f16_e32 v118, 0x3722, v90
	v_fma_f16 v137, v63, s14, v136
	v_fma_f16 v119, v68, s22, v118
	v_add_f16_e32 v77, v137, v77
	v_mul_f16_e32 v137, 0x3964, v85
	v_add_f16_e32 v115, v119, v115
	v_mul_f16_e32 v119, 0xbbdd, v92
	;; [unrolled: 6-line block ×4, first 2 shown]
	v_fma_f16 v140, v69, s16, v139
	v_fma_f16 v122, v74, s36, v121
	v_add_f16_e32 v26, v26, v25
	v_add_f16_e32 v77, v140, v77
	v_mul_f16_e32 v140, 0xbbb2, v91
	v_add_f16_e32 v115, v122, v115
	v_mul_f16_e32 v122, 0xb8d2, v96
	v_add_f16_e32 v26, v27, v26
	v_fma_f16 v141, v71, s26, v140
	v_fma_f16 v123, v75, s28, v122
	v_add_f16_e32 v26, v28, v26
	v_add_f16_e32 v77, v141, v77
	v_mul_f16_e32 v141, 0x3bf7, v93
	v_add_f16_e32 v115, v123, v115
	v_mul_f16_e32 v123, 0xbbb2, v81
	v_add_f16_e32 v26, v29, v26
	v_fma_f16 v142, v73, s17, v141
	v_fma_f16 v124, v60, s26, v123
	v_mul_f16_e32 v125, 0x3836, v82
	v_add_f16_e32 v26, v30, v26
	v_add_f16_e32 v77, v142, v77
	v_add_f16_e32 v124, v25, v124
	v_fma_f16 v142, v61, s14, v125
	v_add_f16_e32 v26, v33, v26
	v_add_f16_e32 v124, v142, v124
	v_mul_f16_e32 v142, 0x3964, v83
	v_add_f16_e32 v26, v34, v26
	v_fma_f16 v143, v63, s25, v142
	v_add_f16_e32 v26, v31, v26
	v_add_f16_e32 v124, v143, v124
	v_mul_f16_e32 v143, 0xbb29, v85
	v_add_f16_e32 v26, v32, v26
	;; [unrolled: 5-line block ×4, first 2 shown]
	v_fma_f16 v146, v69, s17, v145
	v_add_f16_e32 v17, v19, v17
	v_fma_f16 v19, v62, s23, v126
	v_add_f16_e32 v124, v146, v124
	v_mul_f16_e32 v146, 0xb5c8, v91
	v_add_f16_e32 v17, v20, v17
	v_add_f16_e32 v19, v35, v19
	v_fma_f16 v20, v64, s36, v127
	v_fma_f16 v147, v71, s21, v146
	v_add_f16_e32 v19, v20, v19
	v_fma_f16 v20, v66, s15, v128
	s_mov_b32 s34, 0xba62
	v_add_f16_e32 v124, v147, v124
	v_mul_f16_e32 v147, 0xba62, v93
	v_add_f16_e32 v19, v20, v19
	v_fma_f16 v20, v68, s30, v129
	v_fma_f16 v148, v73, s18, v147
	v_add_f16_e32 v19, v20, v19
	v_fma_f16 v20, v70, s34, v130
	s_movk_i32 s38, 0x3bf7
	v_add_f16_e32 v124, v148, v124
	v_mul_f16_e32 v148, 0x2de8, v84
	v_add_f16_e32 v19, v20, v19
	v_fma_f16 v20, v72, s22, v131
	v_fma_f16 v149, v62, s38, v148
	v_mul_f16_e32 v150, 0xbbdd, v86
	v_add_f16_e32 v19, v20, v19
	v_fma_f16 v20, v74, s27, v132
	v_add_f16_e32 v149, v35, v149
	v_fma_f16 v151, v64, s37, v150
	;; [unrolled: 2-line block ×3, first 2 shown]
	v_add_f16_e32 v149, v151, v149
	v_mul_f16_e32 v151, 0xb461, v88
	v_add_f16_e32 v19, v20, v19
	v_fma_f16 v20, v60, s20, -v134
	v_fma_f16 v152, v66, s27, v151
	v_add_f16_e32 v20, v25, v20
	v_fma_f16 v21, v61, s21, -v135
	v_add_f16_e32 v149, v152, v149
	v_mul_f16_e32 v152, 0x3b76, v90
	v_add_f16_e32 v20, v21, v20
	v_fma_f16 v21, v63, s14, -v136
	v_fma_f16 v153, v68, s24, v152
	v_add_f16_e32 v20, v21, v20
	v_fma_f16 v21, v65, s25, -v137
	;; [unrolled: 7-line block ×4, first 2 shown]
	v_add_f16_e32 v149, v155, v149
	v_mul_f16_e32 v155, 0xb8d2, v95
	v_add_f16_e32 v20, v21, v20
	v_fma_f16 v21, v62, s34, v97
	v_fma_f16 v156, v74, s34, v155
	v_add_f16_e32 v21, v35, v21
	v_fma_f16 v22, v64, s35, v98
	v_add_f16_e32 v149, v156, v149
	v_mul_f16_e32 v156, 0x39e9, v96
	v_add_f16_e32 v21, v22, v21
	v_fma_f16 v22, v66, s24, v99
	v_fma_f16 v157, v75, s29, v156
	v_add_f16_e32 v21, v22, v21
	v_fma_f16 v22, v68, s15, v100
	v_add_f16_e32 v149, v157, v149
	v_mul_f16_e32 v157, 0xbbf7, v81
	v_add_f16_e32 v21, v22, v21
	v_fma_f16 v22, v70, s38, v101
	v_fma_f16 v158, v60, s17, v157
	v_mul_f16_e32 v159, 0xb1e1, v82
	v_add_f16_e32 v21, v22, v21
	v_fma_f16 v22, v72, s29, v102
	v_add_f16_e32 v158, v25, v158
	v_fma_f16 v160, v61, s20, v159
	;; [unrolled: 2-line block ×3, first 2 shown]
	v_add_f16_e32 v158, v160, v158
	v_mul_f16_e32 v160, 0x3bb2, v83
	v_add_f16_e32 v21, v22, v21
	v_fma_f16 v22, v75, s22, v104
	v_fma_f16 v161, v63, s26, v160
	v_add_f16_e32 v21, v22, v21
	v_fma_f16 v22, v60, s18, -v105
	v_add_f16_e32 v158, v161, v158
	v_mul_f16_e32 v161, 0x35c8, v85
	v_add_f16_e32 v22, v25, v22
	v_fma_f16 v26, v61, s26, -v107
	v_fma_f16 v162, v65, s21, v161
	v_add_f16_e32 v22, v26, v22
	v_fma_f16 v26, v63, s21, -v108
	v_add_f16_e32 v158, v162, v158
	v_mul_f16_e32 v162, 0xbb29, v87
	v_add_f16_e32 v22, v26, v22
	v_fma_f16 v26, v65, s14, -v109
	;; [unrolled: 7-line block ×4, first 2 shown]
	v_fma_f16 v165, v71, s18, v164
	v_add_f16_e32 v22, v26, v22
	v_fma_f16 v26, v62, s27, v114
	v_add_f16_e32 v158, v165, v158
	v_mul_f16_e32 v165, 0x3964, v93
	v_add_f16_e32 v26, v35, v26
	v_fma_f16 v27, v64, s33, v116
	v_fma_f16 v166, v73, s25, v165
	v_add_f16_e32 v26, v27, v26
	v_fma_f16 v27, v66, s30, v117
	v_add_f16_e32 v158, v166, v158
	v_mul_f16_e32 v166, 0x3722, v84
	v_add_f16_e32 v26, v27, v26
	v_fma_f16 v27, v68, s31, v118
	v_fma_f16 v167, v62, s22, v166
	v_mul_f16_e32 v168, 0xb8d2, v86
	v_add_f16_e32 v26, v27, v26
	v_fma_f16 v27, v70, s23, v119
	v_add_f16_e32 v167, v35, v167
	v_fma_f16 v169, v64, s28, v168
	;; [unrolled: 2-line block ×3, first 2 shown]
	v_add_f16_e32 v167, v169, v167
	v_mul_f16_e32 v169, 0xbbdd, v88
	v_add_f16_e32 v26, v27, v26
	v_fma_f16 v27, v74, s24, v121
	v_fma_f16 v170, v66, s23, v169
	v_add_f16_e32 v26, v27, v26
	v_fma_f16 v27, v75, s34, v122
	v_add_f16_e32 v167, v170, v167
	v_mul_f16_e32 v170, 0xb461, v90
	v_add_f16_e32 v26, v27, v26
	v_fma_f16 v27, v60, s26, -v123
	v_fma_f16 v171, v68, s27, v170
	v_add_f16_e32 v27, v25, v27
	v_fma_f16 v28, v61, s14, -v125
	v_add_f16_e32 v167, v171, v167
	v_mul_f16_e32 v171, 0x39e9, v92
	v_add_f16_e32 v27, v28, v27
	v_fma_f16 v28, v63, s25, -v142
	v_fma_f16 v172, v70, s29, v171
	v_add_f16_e32 v27, v28, v27
	v_fma_f16 v28, v65, s16, -v143
	;; [unrolled: 7-line block ×4, first 2 shown]
	v_add_f16_e32 v167, v174, v167
	v_mul_f16_e32 v174, 0xbacd, v96
	v_add_f16_e32 v27, v28, v27
	v_fma_f16 v28, v62, s19, v148
	v_fma_f16 v175, v75, s33, v174
	v_add_f16_e32 v28, v35, v28
	v_fma_f16 v29, v64, s23, v150
	v_add_f16_e32 v167, v175, v167
	v_mul_f16_e32 v175, 0xbb29, v81
	v_add_f16_e32 v28, v29, v28
	v_fma_f16 v29, v66, s35, v151
	v_fma_f16 v176, v60, s16, v175
	v_mul_f16_e32 v177, 0xba62, v82
	v_add_f16_e32 v28, v29, v28
	v_fma_f16 v29, v68, s36, v152
	v_add_f16_e32 v176, v25, v176
	v_fma_f16 v178, v61, s18, v177
	;; [unrolled: 2-line block ×3, first 2 shown]
	v_add_f16_e32 v176, v178, v176
	v_mul_f16_e32 v178, 0x31e1, v83
	v_add_f16_e32 v28, v29, v28
	v_fma_f16 v29, v72, s15, v154
	v_fma_f16 v179, v63, s20, v178
	v_add_f16_e32 v28, v29, v28
	v_fma_f16 v29, v74, s28, v155
	v_add_f16_e32 v176, v179, v176
	v_mul_f16_e32 v179, 0x3bb2, v85
	v_add_f16_e32 v28, v29, v28
	v_fma_f16 v29, v75, s30, v156
	v_fma_f16 v180, v65, s26, v179
	v_add_f16_e32 v28, v29, v28
	v_fma_f16 v29, v60, s17, -v157
	v_add_f16_e32 v176, v180, v176
	v_mul_f16_e32 v180, 0x3964, v87
	v_add_f16_e32 v29, v25, v29
	v_fma_f16 v30, v61, s20, -v159
	v_fma_f16 v181, v67, s25, v180
	v_add_f16_e32 v29, v30, v29
	v_fma_f16 v30, v63, s26, -v160
	v_add_f16_e32 v176, v181, v176
	v_mul_f16_e32 v181, 0xb5c8, v89
	v_add_f16_e32 v29, v30, v29
	v_fma_f16 v30, v65, s21, -v161
	;; [unrolled: 7-line block ×4, first 2 shown]
	v_fma_f16 v184, v73, s14, v183
	v_add_f16_e32 v29, v30, v29
	v_fma_f16 v30, v62, s31, v166
	v_add_f16_e32 v176, v184, v176
	v_mul_f16_e32 v184, 0x39e9, v84
	v_add_f16_e32 v30, v35, v30
	v_fma_f16 v31, v64, s34, v168
	v_fma_f16 v185, v62, s30, v184
	v_mul_f16_e32 v186, 0x2de8, v86
	v_add_f16_e32 v30, v31, v30
	v_fma_f16 v31, v66, s37, v169
	v_add_f16_e32 v185, v35, v185
	v_fma_f16 v187, v64, s38, v186
	;; [unrolled: 2-line block ×3, first 2 shown]
	v_add_f16_e32 v185, v187, v185
	v_mul_f16_e32 v187, 0xb8d2, v88
	v_add_f16_e32 v30, v31, v30
	v_fma_f16 v31, v70, s30, v171
	v_fma_f16 v188, v66, s28, v187
	v_add_f16_e32 v30, v31, v30
	v_fma_f16 v31, v72, s24, v172
	v_add_f16_e32 v185, v188, v185
	v_mul_f16_e32 v188, 0xbbdd, v90
	v_add_f16_e32 v30, v31, v30
	v_fma_f16 v31, v74, s19, v173
	v_fma_f16 v189, v68, s37, v188
	v_add_f16_e32 v30, v31, v30
	v_fma_f16 v31, v75, s15, v174
	v_add_f16_e32 v185, v189, v185
	v_mul_f16_e32 v189, 0xbacd, v92
	v_add_f16_e32 v30, v31, v30
	v_fma_f16 v31, v60, s16, -v175
	v_fma_f16 v190, v70, s15, v189
	v_add_f16_e32 v31, v25, v31
	v_fma_f16 v32, v61, s18, -v177
	v_add_f16_e32 v185, v190, v185
	v_mul_f16_e32 v190, 0xb461, v94
	v_add_f16_e32 v31, v32, v31
	v_fma_f16 v32, v63, s20, -v178
	v_fma_f16 v191, v72, s27, v190
	v_add_f16_e32 v31, v32, v31
	v_fma_f16 v32, v65, s26, -v179
	;; [unrolled: 7-line block ×4, first 2 shown]
	v_add_f16_e32 v185, v193, v185
	v_mul_f16_e32 v193, 0xb964, v81
	v_add_f16_e32 v31, v32, v31
	v_fma_f16 v32, v62, s29, v184
	v_fma_f16 v194, v60, s25, v193
	v_mul_f16_e32 v195, 0xbbf7, v82
	v_add_f16_e32 v32, v35, v32
	v_fma_f16 v33, v64, s19, v186
	v_add_f16_e32 v194, v25, v194
	v_fma_f16 v196, v61, s17, v195
	v_add_f16_e32 v32, v33, v32
	v_fma_f16 v33, v66, s34, v187
	v_add_f16_e32 v194, v196, v194
	v_mul_f16_e32 v196, 0xba62, v83
	v_add_f16_e32 v32, v33, v32
	v_fma_f16 v33, v68, s23, v188
	v_fma_f16 v197, v63, s18, v196
	v_add_f16_e32 v32, v33, v32
	v_fma_f16 v33, v70, s33, v189
	v_add_f16_e32 v194, v197, v194
	v_mul_f16_e32 v197, 0xb1e1, v85
	v_add_f16_e32 v32, v33, v32
	v_fma_f16 v33, v72, s35, v190
	v_fma_f16 v198, v65, s20, v197
	v_add_f16_e32 v32, v33, v32
	v_fma_f16 v33, v74, s22, v191
	v_add_f16_e32 v194, v198, v194
	v_mul_f16_e32 v198, 0x3836, v87
	v_add_f16_e32 v32, v33, v32
	v_fma_f16 v33, v75, s36, v192
	v_fma_f16 v199, v67, s14, v198
	v_add_f16_e32 v32, v33, v32
	v_fma_f16 v33, v60, s25, -v193
	v_add_f16_e32 v194, v199, v194
	v_mul_f16_e32 v199, 0x3bb2, v89
	v_add_f16_e32 v33, v25, v33
	v_fma_f16 v34, v61, s17, -v195
	v_fma_f16 v200, v69, s26, v199
	v_add_f16_e32 v33, v34, v33
	v_fma_f16 v34, v63, s18, -v196
	v_add_f16_e32 v194, v200, v194
	v_mul_f16_e32 v200, 0x3b29, v91
	v_add_f16_e32 v33, v34, v33
	v_fma_f16 v34, v65, s20, -v197
	;; [unrolled: 7-line block ×3, first 2 shown]
	v_fma_f16 v202, v73, s21, v201
	v_mul_f16_e32 v84, 0x3b76, v84
	v_add_f16_e32 v33, v34, v33
	v_fma_f16 v34, v71, s16, -v200
	v_add_f16_e32 v194, v202, v194
	v_fma_f16 v202, v62, s36, v84
	v_mul_f16_e32 v86, 0x39e9, v86
	v_add_f16_e32 v33, v34, v33
	v_fma_f16 v34, v73, s21, -v201
	v_add_f16_e32 v202, v35, v202
	v_fma_f16 v203, v64, s30, v86
	v_mul_f16_e32 v88, 0x3722, v88
	v_add_f16_e32 v18, v48, v35
	v_add_f16_e32 v33, v34, v33
	v_fma_f16 v34, v62, s24, v84
	v_add_f16_e32 v202, v203, v202
	v_fma_f16 v203, v66, s22, v88
	v_mul_f16_e32 v90, 0x2de8, v90
	v_add_f16_e32 v18, v49, v18
	v_add_f16_e32 v34, v35, v34
	v_fma_f16 v35, v64, s29, v86
	;; [unrolled: 6-line block ×8, first 2 shown]
	v_add_f16_e32 v203, v25, v203
	v_fma_f16 v204, v61, s25, v82
	v_mul_f16_e32 v83, 0xbb29, v83
	v_add_f16_e32 v18, v53, v18
	v_add_f16_e32 v34, v35, v34
	v_fma_f16 v35, v60, s21, -v81
	v_add_f16_e32 v203, v204, v203
	v_fma_f16 v204, v63, s16, v83
	v_mul_f16_e32 v85, 0xbbf7, v85
	v_add_f16_e32 v18, v51, v18
	v_add_f16_e32 v25, v25, v35
	v_fma_f16 v35, v61, s25, -v82
	;; [unrolled: 6-line block ×6, first 2 shown]
	v_add_f16_e32 v203, v204, v203
	v_fma_f16 v204, v73, s20, v93
	v_add_f16_e32 v18, v40, v18
	v_add_f16_e32 v25, v35, v25
	v_fma_f16 v35, v71, s14, -v91
	v_add_f16_e32 v203, v204, v203
	v_add_f16_e32 v17, v39, v17
	v_add_f16_e32 v18, v45, v18
	v_add_f16_e32 v25, v35, v25
	v_fma_f16 v35, v73, s20, -v93
	v_add_f16_e32 v25, v35, v25
	v_lshlrev_b32_e32 v35, 2, v38
	v_pack_b32_f16 v38, v203, v202
	v_pack_b32_f16 v17, v17, v18
	ds_write2_b32 v35, v17, v38 offset1:1
	v_pack_b32_f16 v17, v176, v167
	v_pack_b32_f16 v18, v194, v185
	ds_write2_b32 v35, v18, v17 offset0:2 offset1:3
	v_pack_b32_f16 v17, v124, v115
	v_pack_b32_f16 v18, v158, v149
	ds_write2_b32 v35, v18, v17 offset0:4 offset1:5
	;; [unrolled: 3-line block ×3, first 2 shown]
	v_pack_b32_f16 v17, v20, v19
	v_pack_b32_f16 v18, v77, v76
	s_mov_b32 s14, 0x5040100
	ds_write2_b32 v35, v18, v17 offset0:8 offset1:9
	v_pack_b32_f16 v17, v22, v21
	v_perm_b32 v18, v58, v56, s14
	ds_write2_b32 v35, v18, v17 offset0:10 offset1:11
	v_pack_b32_f16 v17, v29, v28
	v_pack_b32_f16 v18, v27, v26
	ds_write2_b32 v35, v18, v17 offset0:12 offset1:13
	v_pack_b32_f16 v17, v33, v32
	v_pack_b32_f16 v18, v31, v30
	ds_write2_b32 v35, v18, v17 offset0:14 offset1:15
	v_pack_b32_f16 v17, v25, v34
	ds_write_b32 v35, v17 offset:64
.LBB0_17:
	s_or_b64 exec, exec, s[4:5]
	s_waitcnt lgkmcnt(0)
	s_barrier
	ds_read2_b32 v[17:18], v36 offset1:187
	v_add_u32_e32 v19, 0x500, v36
	ds_read2_b32 v[19:20], v19 offset0:54 offset1:241
	v_add_u32_e32 v21, 0xb00, v36
	ds_read2_b32 v[21:22], v21 offset0:44 offset1:231
	s_waitcnt lgkmcnt(2)
	v_lshrrev_b32_e32 v30, 16, v18
	v_mul_f16_sdwa v41, v0, v30 dst_sel:DWORD dst_unused:UNUSED_PAD src0_sel:WORD_1 src1_sel:DWORD
	s_waitcnt lgkmcnt(1)
	v_lshrrev_b32_e32 v31, 16, v19
	v_fma_f16 v41, v0, v18, v41
	v_mul_f16_sdwa v18, v0, v18 dst_sel:DWORD dst_unused:UNUSED_PAD src0_sel:WORD_1 src1_sel:DWORD
	v_fma_f16 v0, v0, v30, -v18
	v_mul_f16_sdwa v18, v1, v31 dst_sel:DWORD dst_unused:UNUSED_PAD src0_sel:WORD_1 src1_sel:DWORD
	v_lshrrev_b32_e32 v32, 16, v20
	v_add_u32_e32 v25, 0x1100, v36
	v_fma_f16 v18, v1, v19, v18
	v_mul_f16_sdwa v19, v1, v19 dst_sel:DWORD dst_unused:UNUSED_PAD src0_sel:WORD_1 src1_sel:DWORD
	ds_read2_b32 v[25:26], v25 offset0:34 offset1:221
	v_fma_f16 v1, v1, v31, -v19
	v_mul_f16_sdwa v19, v2, v32 dst_sel:DWORD dst_unused:UNUSED_PAD src0_sel:WORD_1 src1_sel:DWORD
	s_waitcnt lgkmcnt(1)
	v_lshrrev_b32_e32 v33, 16, v21
	v_fma_f16 v19, v2, v20, v19
	v_mul_f16_sdwa v20, v2, v20 dst_sel:DWORD dst_unused:UNUSED_PAD src0_sel:WORD_1 src1_sel:DWORD
	v_fma_f16 v2, v2, v32, -v20
	v_mul_f16_sdwa v20, v3, v33 dst_sel:DWORD dst_unused:UNUSED_PAD src0_sel:WORD_1 src1_sel:DWORD
	v_add_u32_e32 v27, 0x1700, v36
	v_lshrrev_b32_e32 v34, 16, v22
	v_fma_f16 v20, v3, v21, v20
	v_mul_f16_sdwa v21, v3, v21 dst_sel:DWORD dst_unused:UNUSED_PAD src0_sel:WORD_1 src1_sel:DWORD
	ds_read2_b32 v[27:28], v27 offset0:24 offset1:211
	v_fma_f16 v3, v3, v33, -v21
	v_mul_f16_sdwa v21, v4, v34 dst_sel:DWORD dst_unused:UNUSED_PAD src0_sel:WORD_1 src1_sel:DWORD
	s_waitcnt lgkmcnt(1)
	v_lshrrev_b32_e32 v35, 16, v25
	v_fma_f16 v21, v4, v22, v21
	v_mul_f16_sdwa v22, v4, v22 dst_sel:DWORD dst_unused:UNUSED_PAD src0_sel:WORD_1 src1_sel:DWORD
	v_fma_f16 v4, v4, v34, -v22
	v_mul_f16_sdwa v22, v5, v35 dst_sel:DWORD dst_unused:UNUSED_PAD src0_sel:WORD_1 src1_sel:DWORD
	v_lshrrev_b32_e32 v38, 16, v26
	v_fma_f16 v22, v5, v25, v22
	v_mul_f16_sdwa v25, v5, v25 dst_sel:DWORD dst_unused:UNUSED_PAD src0_sel:WORD_1 src1_sel:DWORD
	v_fma_f16 v5, v5, v35, -v25
	v_mul_f16_sdwa v25, v6, v38 dst_sel:DWORD dst_unused:UNUSED_PAD src0_sel:WORD_1 src1_sel:DWORD
	s_waitcnt lgkmcnt(0)
	v_lshrrev_b32_e32 v39, 16, v27
	v_fma_f16 v25, v6, v26, v25
	v_mul_f16_sdwa v26, v6, v26 dst_sel:DWORD dst_unused:UNUSED_PAD src0_sel:WORD_1 src1_sel:DWORD
	v_fma_f16 v6, v6, v38, -v26
	v_mul_f16_sdwa v26, v7, v39 dst_sel:DWORD dst_unused:UNUSED_PAD src0_sel:WORD_1 src1_sel:DWORD
	v_fma_f16 v26, v7, v27, v26
	v_mul_f16_sdwa v27, v7, v27 dst_sel:DWORD dst_unused:UNUSED_PAD src0_sel:WORD_1 src1_sel:DWORD
	v_fma_f16 v7, v7, v39, -v27
	v_add_f16_e32 v31, v20, v22
	v_fma_f16 v31, v31, -0.5, v17
	v_sub_f16_e32 v32, v1, v7
	s_mov_b32 s4, 0xbb9c
	s_movk_i32 s15, 0x3b9c
	v_fma_f16 v33, v32, s4, v31
	v_sub_f16_e32 v34, v3, v5
	s_mov_b32 s5, 0xb8b4
	v_sub_f16_e32 v35, v18, v20
	v_sub_f16_e32 v38, v26, v22
	v_fma_f16 v31, v32, s15, v31
	s_movk_i32 s16, 0x38b4
	v_fma_f16 v33, v34, s5, v33
	v_add_f16_e32 v35, v35, v38
	s_movk_i32 s14, 0x34f2
	v_fma_f16 v31, v34, s16, v31
	v_fma_f16 v33, v35, s14, v33
	;; [unrolled: 1-line block ×3, first 2 shown]
	v_add_f16_e32 v35, v18, v26
	v_lshrrev_b32_e32 v29, 16, v17
	v_add_f16_e32 v30, v17, v18
	v_fma_f16 v17, v35, -0.5, v17
	v_add_f16_e32 v30, v30, v20
	v_fma_f16 v35, v34, s15, v17
	v_fma_f16 v17, v34, s4, v17
	v_add_f16_e32 v34, v3, v5
	v_add_f16_e32 v30, v30, v22
	v_sub_f16_e32 v38, v20, v18
	v_sub_f16_e32 v39, v22, v26
	v_fma_f16 v34, v34, -0.5, v29
	v_sub_f16_e32 v18, v18, v26
	v_add_f16_e32 v30, v30, v26
	v_fma_f16 v35, v32, s5, v35
	v_add_f16_e32 v38, v38, v39
	v_fma_f16 v17, v32, s16, v17
	v_fma_f16 v26, v18, s15, v34
	v_sub_f16_e32 v20, v20, v22
	v_fma_f16 v35, v38, s14, v35
	v_fma_f16 v17, v38, s14, v17
	;; [unrolled: 1-line block ×3, first 2 shown]
	v_sub_f16_e32 v26, v1, v3
	v_sub_f16_e32 v38, v7, v5
	v_add_f16_e32 v26, v26, v38
	v_fma_f16 v38, v26, s14, v22
	v_fma_f16 v22, v18, s4, v34
	;; [unrolled: 1-line block ×3, first 2 shown]
	v_add_f16_e32 v32, v29, v1
	v_fma_f16 v34, v26, s14, v22
	v_add_f16_e32 v22, v1, v7
	v_add_f16_e32 v32, v32, v3
	v_fma_f16 v22, v22, -0.5, v29
	v_sub_f16_e32 v1, v3, v1
	v_sub_f16_e32 v3, v5, v7
	v_fma_f16 v26, v20, s4, v22
	v_add_f16_e32 v1, v1, v3
	v_fma_f16 v3, v20, s15, v22
	v_fma_f16 v26, v18, s16, v26
	;; [unrolled: 1-line block ×3, first 2 shown]
	v_lshrrev_b32_e32 v40, 16, v28
	v_fma_f16 v29, v1, s14, v26
	v_fma_f16 v39, v1, s14, v3
	v_add_f16_e32 v1, v41, v19
	v_mul_f16_sdwa v27, v46, v40 dst_sel:DWORD dst_unused:UNUSED_PAD src0_sel:WORD_1 src1_sel:DWORD
	v_add_f16_e32 v1, v1, v21
	v_fma_f16 v27, v46, v28, v27
	v_mul_f16_sdwa v28, v46, v28 dst_sel:DWORD dst_unused:UNUSED_PAD src0_sel:WORD_1 src1_sel:DWORD
	v_add_f16_e32 v1, v1, v25
	v_fma_f16 v28, v46, v40, -v28
	v_add_f16_e32 v3, v1, v27
	v_add_f16_e32 v1, v21, v25
	;; [unrolled: 1-line block ×3, first 2 shown]
	v_fma_f16 v1, v1, -0.5, v41
	v_sub_f16_e32 v5, v2, v28
	v_add_f16_e32 v32, v32, v7
	v_fma_f16 v7, v5, s4, v1
	v_sub_f16_e32 v18, v4, v6
	v_sub_f16_e32 v20, v19, v21
	;; [unrolled: 1-line block ×3, first 2 shown]
	v_fma_f16 v1, v5, s15, v1
	v_fma_f16 v7, v18, s5, v7
	v_add_f16_e32 v20, v20, v22
	v_fma_f16 v1, v18, s16, v1
	v_fma_f16 v7, v20, s14, v7
	;; [unrolled: 1-line block ×3, first 2 shown]
	v_add_f16_e32 v1, v19, v27
	v_fma_f16 v1, v1, -0.5, v41
	v_fma_f16 v22, v18, s15, v1
	v_sub_f16_e32 v26, v21, v19
	v_sub_f16_e32 v40, v25, v27
	v_fma_f16 v1, v18, s4, v1
	v_add_f16_e32 v26, v26, v40
	v_fma_f16 v1, v5, s16, v1
	v_fma_f16 v18, v26, s14, v1
	v_add_f16_e32 v1, v0, v2
	v_add_f16_e32 v1, v1, v4
	;; [unrolled: 1-line block ×5, first 2 shown]
	v_fma_f16 v22, v5, s5, v22
	v_fma_f16 v1, v1, -0.5, v0
	v_sub_f16_e32 v5, v19, v27
	v_fma_f16 v22, v26, s14, v22
	v_fma_f16 v19, v5, s15, v1
	v_sub_f16_e32 v21, v21, v25
	v_sub_f16_e32 v25, v2, v4
	;; [unrolled: 1-line block ×3, first 2 shown]
	v_fma_f16 v1, v5, s4, v1
	v_fma_f16 v19, v21, s16, v19
	v_add_f16_e32 v25, v25, v26
	v_fma_f16 v1, v21, s5, v1
	v_fma_f16 v26, v25, s14, v19
	;; [unrolled: 1-line block ×3, first 2 shown]
	v_add_f16_e32 v1, v2, v28
	v_fma_f16 v0, v1, -0.5, v0
	v_fma_f16 v1, v21, s4, v0
	v_sub_f16_e32 v2, v4, v2
	v_sub_f16_e32 v4, v6, v28
	v_fma_f16 v1, v5, s16, v1
	v_add_f16_e32 v2, v2, v4
	v_fma_f16 v0, v21, s15, v0
	v_fma_f16 v6, v2, s14, v1
	;; [unrolled: 1-line block ×4, first 2 shown]
	v_mul_f16_e32 v1, 0xb8b4, v26
	s_movk_i32 s4, 0x3a79
	v_mul_f16_e32 v2, 0xbb9c, v6
	v_fma_f16 v28, v7, s4, v1
	v_fma_f16 v41, v22, s14, v2
	v_mul_f16_e32 v2, 0xbb9c, v21
	s_mov_b32 s4, 0xb4f2
	v_mul_f16_e32 v26, 0x3a79, v26
	v_mul_f16_e32 v6, 0x34f2, v6
	v_fma_f16 v42, v18, s4, v2
	v_mul_f16_e32 v2, 0xb8b4, v25
	s_mov_b32 s4, 0xba79
	v_fma_f16 v44, v7, s16, v26
	v_fma_f16 v45, v22, s15, v6
	v_mul_f16_e32 v6, 0xb4f2, v21
	v_add_f16_e32 v0, v30, v3
	v_add_f16_e32 v1, v33, v28
	v_fma_f16 v43, v20, s4, v2
	v_add_f16_e32 v19, v32, v40
	v_add_f16_e32 v27, v38, v44
	v_fma_f16 v46, v18, s15, v6
	v_mul_f16_e32 v6, 0xba79, v25
	v_add_f16_e32 v4, v35, v41
	v_add_f16_e32 v5, v17, v42
	;; [unrolled: 1-line block ×5, first 2 shown]
	v_fma_f16 v48, v20, s16, v6
	v_sub_f16_e32 v18, v31, v43
	v_sub_f16_e32 v21, v32, v40
	v_pack_b32_f16 v31, v0, v19
	v_pack_b32_f16 v32, v1, v27
	v_add_f16_e32 v20, v34, v48
	v_sub_f16_e32 v3, v30, v3
	s_barrier
	ds_write2_b32 v47, v31, v32 offset1:17
	v_pack_b32_f16 v31, v4, v26
	v_pack_b32_f16 v32, v5, v22
	v_sub_f16_e32 v6, v33, v28
	v_sub_f16_e32 v7, v35, v41
	;; [unrolled: 1-line block ×4, first 2 shown]
	ds_write2_b32 v47, v31, v32 offset0:34 offset1:51
	v_pack_b32_f16 v31, v2, v20
	v_pack_b32_f16 v32, v3, v21
	v_sub_f16_e32 v17, v17, v42
	v_sub_f16_e32 v29, v39, v46
	;; [unrolled: 1-line block ×3, first 2 shown]
	ds_write2_b32 v47, v31, v32 offset0:68 offset1:85
	v_pack_b32_f16 v31, v6, v25
	v_pack_b32_f16 v32, v7, v28
	ds_write2_b32 v47, v31, v32 offset0:102 offset1:119
	v_pack_b32_f16 v31, v17, v29
	v_pack_b32_f16 v32, v18, v30
	ds_write2_b32 v47, v31, v32 offset0:136 offset1:153
	s_waitcnt lgkmcnt(0)
	s_barrier
	s_and_saveexec_b64 s[4:5], s[2:3]
	s_cbranch_execz .LBB0_19
; %bb.18:
	v_add_u32_e32 v2, 0x400, v36
	ds_read2_b32 v[4:5], v2 offset0:84 offset1:254
	v_add_u32_e32 v2, 0xa00, v36
	v_add_u32_e32 v6, 0xf00, v36
	;; [unrolled: 1-line block ×3, first 2 shown]
	ds_read2_b32 v[0:1], v36 offset1:170
	ds_read2_b32 v[2:3], v2 offset0:40 offset1:210
	ds_read2_b32 v[6:7], v6 offset0:60 offset1:230
	;; [unrolled: 1-line block ×3, first 2 shown]
	ds_read_b32 v56, v36 offset:6800
	s_waitcnt lgkmcnt(4)
	v_lshrrev_b32_e32 v19, 16, v0
	v_lshrrev_b32_e32 v27, 16, v1
	;; [unrolled: 1-line block ×4, first 2 shown]
	s_waitcnt lgkmcnt(3)
	v_lshrrev_b32_e32 v20, 16, v2
	v_lshrrev_b32_e32 v21, 16, v3
	s_waitcnt lgkmcnt(2)
	v_lshrrev_b32_e32 v25, 16, v6
	v_lshrrev_b32_e32 v28, 16, v7
	;; [unrolled: 3-line block ×3, first 2 shown]
	s_waitcnt lgkmcnt(0)
	v_lshrrev_b32_e32 v58, 16, v56
.LBB0_19:
	s_or_b64 exec, exec, s[4:5]
	s_and_saveexec_b64 s[4:5], s[2:3]
	s_cbranch_execz .LBB0_21
; %bb.20:
	v_mul_f16_sdwa v31, v8, v27 dst_sel:DWORD dst_unused:UNUSED_PAD src0_sel:WORD_1 src1_sel:DWORD
	v_mul_f16_sdwa v32, v24, v58 dst_sel:DWORD dst_unused:UNUSED_PAD src0_sel:WORD_1 src1_sel:DWORD
	v_mul_f16_sdwa v35, v24, v56 dst_sel:DWORD dst_unused:UNUSED_PAD src0_sel:WORD_1 src1_sel:DWORD
	v_fma_f16 v31, v8, v1, v31
	v_fma_f16 v32, v24, v56, v32
	v_fma_f16 v24, v24, v58, -v35
	v_mul_f16_sdwa v1, v8, v1 dst_sel:DWORD dst_unused:UNUSED_PAD src0_sel:WORD_1 src1_sel:DWORD
	v_mul_f16_sdwa v35, v9, v26 dst_sel:DWORD dst_unused:UNUSED_PAD src0_sel:WORD_1 src1_sel:DWORD
	;; [unrolled: 1-line block ×3, first 2 shown]
	v_sub_f16_e32 v33, v31, v32
	v_fma_f16 v1, v8, v27, -v1
	v_fma_f16 v35, v9, v4, v35
	v_fma_f16 v38, v23, v18, v38
	v_mul_f16_sdwa v18, v23, v18 dst_sel:DWORD dst_unused:UNUSED_PAD src0_sel:WORD_1 src1_sel:DWORD
	v_mul_f16_sdwa v4, v9, v4 dst_sel:DWORD dst_unused:UNUSED_PAD src0_sel:WORD_1 src1_sel:DWORD
	v_mul_f16_e32 v34, 0xbbeb, v33
	v_add_f16_e32 v8, v24, v1
	s_mov_b32 s2, 0xb08e
	v_sub_f16_e32 v39, v35, v38
	v_fma_f16 v18, v23, v30, -v18
	v_fma_f16 v4, v9, v26, -v4
	v_fma_f16 v27, v8, s2, v34
	v_mul_f16_e32 v40, 0x3482, v39
	v_add_f16_e32 v9, v18, v4
	s_mov_b32 s14, 0xbbad
	v_add_f16_e32 v27, v19, v27
	v_fma_f16 v23, v9, s14, v40
	v_add_f16_e32 v23, v23, v27
	v_mul_f16_sdwa v26, v10, v22 dst_sel:DWORD dst_unused:UNUSED_PAD src0_sel:WORD_1 src1_sel:DWORD
	v_mul_f16_sdwa v27, v15, v29 dst_sel:DWORD dst_unused:UNUSED_PAD src0_sel:WORD_1 src1_sel:DWORD
	v_fma_f16 v26, v10, v5, v26
	v_fma_f16 v27, v15, v17, v27
	v_mul_f16_sdwa v17, v15, v17 dst_sel:DWORD dst_unused:UNUSED_PAD src0_sel:WORD_1 src1_sel:DWORD
	v_mul_f16_sdwa v5, v10, v5 dst_sel:DWORD dst_unused:UNUSED_PAD src0_sel:WORD_1 src1_sel:DWORD
	v_sub_f16_e32 v30, v26, v27
	v_fma_f16 v15, v15, v29, -v17
	v_fma_f16 v5, v10, v22, -v5
	v_mul_f16_e32 v41, 0x3b47, v30
	v_add_f16_e32 v10, v15, v5
	s_movk_i32 s15, 0x36a6
	v_fma_f16 v17, v10, s15, v41
	v_add_f16_e32 v17, v17, v23
	v_mul_f16_sdwa v22, v11, v20 dst_sel:DWORD dst_unused:UNUSED_PAD src0_sel:WORD_1 src1_sel:DWORD
	v_mul_f16_sdwa v23, v14, v28 dst_sel:DWORD dst_unused:UNUSED_PAD src0_sel:WORD_1 src1_sel:DWORD
	v_fma_f16 v22, v11, v2, v22
	v_fma_f16 v23, v14, v7, v23
	v_mul_f16_sdwa v7, v14, v7 dst_sel:DWORD dst_unused:UNUSED_PAD src0_sel:WORD_1 src1_sel:DWORD
	v_mul_f16_sdwa v2, v11, v2 dst_sel:DWORD dst_unused:UNUSED_PAD src0_sel:WORD_1 src1_sel:DWORD
	v_sub_f16_e32 v29, v22, v23
	v_fma_f16 v7, v14, v28, -v7
	v_fma_f16 v2, v11, v20, -v2
	v_mul_f16_e32 v42, 0xb853, v29
	v_add_f16_e32 v11, v7, v2
	s_movk_i32 s17, 0x3abb
	v_fma_f16 v14, v11, s17, v42
	v_add_f16_e32 v14, v14, v17
	v_mul_f16_sdwa v17, v12, v21 dst_sel:DWORD dst_unused:UNUSED_PAD src0_sel:WORD_1 src1_sel:DWORD
	v_mul_f16_sdwa v20, v13, v25 dst_sel:DWORD dst_unused:UNUSED_PAD src0_sel:WORD_1 src1_sel:DWORD
	v_fma_f16 v17, v12, v3, v17
	v_fma_f16 v20, v13, v6, v20
	v_mul_f16_sdwa v6, v13, v6 dst_sel:DWORD dst_unused:UNUSED_PAD src0_sel:WORD_1 src1_sel:DWORD
	v_mul_f16_sdwa v3, v12, v3 dst_sel:DWORD dst_unused:UNUSED_PAD src0_sel:WORD_1 src1_sel:DWORD
	v_sub_f16_e32 v28, v17, v20
	v_fma_f16 v6, v13, v25, -v6
	v_fma_f16 v3, v12, v21, -v3
	v_mul_f16_e32 v43, 0xba0c, v28
	v_add_f16_e32 v12, v6, v3
	s_mov_b32 s19, 0xb93d
	v_fma_f16 v13, v12, s19, v43
	v_sub_f16_e32 v21, v1, v24
	v_add_f16_e32 v13, v13, v14
	v_add_f16_e32 v14, v32, v31
	v_mul_f16_e32 v25, 0xbbeb, v21
	v_sub_f16_e32 v46, v4, v18
	v_fma_f16 v44, v14, s2, -v25
	v_add_f16_e32 v45, v38, v35
	v_mul_f16_e32 v47, 0x3482, v46
	v_add_f16_e32 v44, v0, v44
	v_fma_f16 v48, v45, s14, -v47
	v_sub_f16_e32 v49, v5, v15
	v_add_f16_e32 v44, v48, v44
	v_add_f16_e32 v48, v27, v26
	v_mul_f16_e32 v50, 0x3b47, v49
	v_fma_f16 v51, v48, s15, -v50
	v_sub_f16_e32 v52, v2, v7
	v_add_f16_e32 v44, v51, v44
	v_add_f16_e32 v51, v23, v22
	v_mul_f16_e32 v53, 0xb853, v52
	;; [unrolled: 5-line block ×3, first 2 shown]
	v_fma_f16 v57, v54, s19, -v56
	v_fma_f16 v34, v8, s2, -v34
	v_add_f16_e32 v44, v57, v44
	v_mul_f16_e32 v57, 0xba0c, v33
	v_add_f16_e32 v34, v19, v34
	v_fma_f16 v40, v9, s14, -v40
	v_fma_f16 v58, v8, s19, v57
	v_mul_f16_e32 v59, 0x3beb, v39
	v_add_f16_e32 v34, v40, v34
	v_fma_f16 v40, v10, s15, -v41
	v_add_f16_e32 v58, v19, v58
	v_fma_f16 v60, v9, s2, v59
	v_add_f16_e32 v34, v40, v34
	v_fma_f16 v40, v11, s17, -v42
	v_add_f16_e32 v58, v60, v58
	v_mul_f16_e32 v60, 0xb853, v30
	v_add_f16_e32 v34, v40, v34
	v_fma_f16 v40, v12, s19, -v43
	v_fma_f16 v25, v14, s2, v25
	v_fma_f16 v61, v10, s17, v60
	v_add_f16_e32 v34, v40, v34
	v_add_f16_e32 v25, v0, v25
	v_fma_f16 v40, v45, s14, v47
	v_add_f16_e32 v58, v61, v58
	v_mul_f16_e32 v61, 0xb482, v29
	v_add_f16_e32 v25, v40, v25
	v_fma_f16 v40, v48, s15, v50
	v_fma_f16 v62, v11, s14, v61
	v_add_f16_e32 v25, v40, v25
	v_fma_f16 v40, v51, s17, v53
	v_add_f16_e32 v58, v62, v58
	v_mul_f16_e32 v62, 0x3b47, v28
	v_add_f16_e32 v25, v40, v25
	v_fma_f16 v40, v54, s19, v56
	s_movk_i32 s21, 0x3b47
	v_fma_f16 v63, v12, s15, v62
	v_fma_f16 v57, v8, s19, -v57
	v_add_f16_e32 v25, v40, v25
	v_mul_f16_e32 v40, 0x36a6, v8
	v_add_f16_e32 v58, v63, v58
	v_mul_f16_e32 v63, 0xba0c, v21
	v_add_f16_e32 v57, v19, v57
	v_fma_f16 v59, v9, s2, -v59
	v_fma_f16 v41, v33, s21, v40
	v_mul_f16_e32 v42, 0xb93d, v9
	s_movk_i32 s25, 0x3a0c
	v_fma_f16 v64, v14, s19, -v63
	v_mul_f16_e32 v65, 0x3beb, v46
	v_add_f16_e32 v57, v59, v57
	v_fma_f16 v59, v10, s17, -v60
	v_add_f16_e32 v41, v19, v41
	v_fma_f16 v43, v39, s25, v42
	s_mov_b32 s22, 0xb482
	v_add_f16_e32 v64, v0, v64
	v_fma_f16 v66, v45, s2, -v65
	v_add_f16_e32 v57, v59, v57
	v_fma_f16 v59, v11, s14, -v61
	v_add_f16_e32 v41, v43, v41
	v_mul_f16_e32 v43, 0xbbad, v10
	v_add_f16_e32 v64, v66, v64
	v_mul_f16_e32 v66, 0xb853, v49
	v_add_f16_e32 v57, v59, v57
	v_fma_f16 v59, v12, s15, -v62
	v_fma_f16 v47, v30, s22, v43
	s_mov_b32 s3, 0xbbeb
	v_fma_f16 v67, v48, s17, -v66
	v_add_f16_e32 v57, v59, v57
	v_fma_f16 v59, v14, s19, v63
	v_add_f16_e32 v41, v47, v41
	v_mul_f16_e32 v47, 0xb08e, v11
	v_add_f16_e32 v64, v67, v64
	v_mul_f16_e32 v67, 0xb482, v52
	v_add_f16_e32 v59, v0, v59
	v_fma_f16 v60, v45, s2, v65
	v_fma_f16 v50, v29, s3, v47
	v_add_f16_e32 v1, v1, v19
	s_mov_b32 s18, 0xb853
	v_fma_f16 v68, v51, s14, -v67
	v_add_f16_e32 v59, v60, v59
	v_fma_f16 v60, v48, s17, v66
	v_add_f16_e32 v41, v50, v41
	v_mul_f16_e32 v50, 0x3abb, v12
	v_add_f16_e32 v1, v4, v1
	v_add_f16_e32 v64, v68, v64
	v_mul_f16_e32 v68, 0x3b47, v55
	v_add_f16_e32 v59, v60, v59
	v_fma_f16 v60, v51, s14, v67
	v_fma_f16 v53, v28, s18, v50
	s_mov_b32 s26, 0xbb47
	v_add_f16_e32 v1, v5, v1
	s_mov_b32 s20, 0xba0c
	v_fma_f16 v69, v54, s15, -v68
	v_add_f16_e32 v59, v60, v59
	v_fma_f16 v60, v54, s15, v68
	v_add_f16_e32 v41, v53, v41
	v_mul_f16_e32 v53, 0xbb47, v21
	v_add_f16_e32 v1, v2, v1
	v_fma_f16 v2, v33, s26, v40
	s_movk_i32 s16, 0x3482
	v_add_f16_e32 v64, v69, v64
	v_mul_f16_e32 v69, 0xb482, v33
	v_add_f16_e32 v59, v60, v59
	v_fma_f16 v56, v14, s15, v53
	v_mul_f16_e32 v60, 0xba0c, v46
	v_add_f16_e32 v1, v3, v1
	v_add_f16_e32 v2, v19, v2
	v_fma_f16 v3, v39, s20, v42
	s_movk_i32 s23, 0x3beb
	v_fma_f16 v70, v8, s14, v69
	v_mul_f16_e32 v71, 0x3853, v39
	v_add_f16_e32 v56, v0, v56
	v_fma_f16 v61, v45, s19, v60
	v_add_f16_e32 v2, v3, v2
	v_fma_f16 v3, v30, s16, v43
	v_add_f16_e32 v70, v19, v70
	s_movk_i32 s24, 0x3853
	v_fma_f16 v72, v9, s17, v71
	v_add_f16_e32 v56, v61, v56
	v_mul_f16_e32 v61, 0x3482, v49
	v_add_f16_e32 v2, v3, v2
	v_fma_f16 v3, v29, s23, v47
	v_add_f16_e32 v70, v72, v70
	v_mul_f16_e32 v72, 0xba0c, v30
	v_fma_f16 v62, v48, s14, v61
	v_add_f16_e32 v2, v3, v2
	v_fma_f16 v3, v28, s24, v50
	v_fma_f16 v73, v10, s19, v72
	v_add_f16_e32 v56, v62, v56
	v_mul_f16_e32 v62, 0x3beb, v52
	v_add_f16_e32 v2, v3, v2
	v_fma_f16 v3, v14, s15, -v53
	v_add_f16_e32 v70, v73, v70
	v_mul_f16_e32 v73, 0x3b47, v29
	v_fma_f16 v63, v51, s2, v62
	v_add_f16_e32 v3, v0, v3
	v_fma_f16 v4, v45, s19, -v60
	v_fma_f16 v74, v11, s15, v73
	v_add_f16_e32 v56, v63, v56
	v_mul_f16_e32 v63, 0x3853, v55
	v_add_f16_e32 v3, v4, v3
	v_fma_f16 v4, v48, s14, -v61
	v_add_f16_e32 v70, v74, v70
	v_mul_f16_e32 v74, 0xbbeb, v28
	v_fma_f16 v69, v8, s14, -v69
	v_fma_f16 v65, v54, s17, v63
	v_mul_f16_e32 v8, 0x3abb, v8
	v_add_f16_e32 v3, v4, v3
	v_fma_f16 v4, v51, s2, -v62
	v_fma_f16 v75, v12, s2, v74
	v_add_f16_e32 v69, v19, v69
	v_fma_f16 v71, v9, s17, -v71
	v_add_f16_e32 v56, v65, v56
	v_fma_f16 v65, v33, s24, v8
	v_mul_f16_e32 v9, 0x36a6, v9
	v_add_f16_e32 v3, v4, v3
	v_fma_f16 v4, v54, s17, -v63
	v_add_f16_e32 v70, v75, v70
	v_mul_f16_e32 v75, 0xb482, v21
	v_add_f16_e32 v69, v71, v69
	v_fma_f16 v71, v10, s19, -v72
	v_add_f16_e32 v65, v19, v65
	v_fma_f16 v66, v39, s21, v9
	v_mul_f16_e32 v10, 0xb08e, v10
	v_add_f16_e32 v31, v0, v31
	v_add_f16_e32 v3, v4, v3
	v_fma_f16 v4, v33, s18, v8
	v_fma_f16 v76, v14, s14, -v75
	v_mul_f16_e32 v77, 0x3853, v46
	v_add_f16_e32 v69, v71, v69
	v_fma_f16 v71, v11, s15, -v73
	v_add_f16_e32 v65, v66, v65
	v_fma_f16 v66, v30, s23, v10
	v_mul_f16_e32 v11, 0xb93d, v11
	v_add_f16_e32 v31, v35, v31
	v_add_f16_e32 v4, v19, v4
	v_fma_f16 v5, v39, s26, v9
	v_add_f16_e32 v76, v0, v76
	v_fma_f16 v78, v45, s17, -v77
	v_add_f16_e32 v69, v71, v69
	v_fma_f16 v71, v12, s2, -v74
	v_add_f16_e32 v65, v66, v65
	v_fma_f16 v66, v29, s25, v11
	v_mul_f16_e32 v12, 0xbbad, v12
	v_add_f16_e32 v26, v26, v31
	v_add_f16_e32 v4, v5, v4
	v_fma_f16 v5, v30, s3, v10
	v_add_f16_e32 v76, v78, v76
	v_mul_f16_e32 v78, 0xba0c, v49
	v_add_f16_e32 v65, v66, v65
	v_fma_f16 v66, v28, s16, v12
	v_mul_f16_e32 v21, 0xb853, v21
	v_add_f16_e32 v22, v22, v26
	v_add_f16_e32 v4, v5, v4
	v_fma_f16 v5, v29, s20, v11
	v_fma_f16 v79, v48, s19, -v78
	v_add_f16_e32 v65, v66, v65
	v_fma_f16 v66, v14, s17, v21
	v_mul_f16_e32 v46, 0xbb47, v46
	v_add_f16_e32 v17, v17, v22
	v_add_f16_e32 v4, v5, v4
	v_fma_f16 v5, v28, s22, v12
	v_add_f16_e32 v76, v79, v76
	v_mul_f16_e32 v79, 0x3b47, v52
	v_add_f16_e32 v69, v71, v69
	v_fma_f16 v71, v14, s14, v75
	v_add_f16_e32 v66, v0, v66
	v_fma_f16 v67, v45, s15, v46
	v_mul_f16_e32 v49, 0xbbeb, v49
	v_add_f16_e32 v17, v20, v17
	v_add_f16_e32 v1, v6, v1
	;; [unrolled: 1-line block ×3, first 2 shown]
	v_fma_f16 v5, v14, s17, -v21
	v_fma_f16 v80, v51, s15, -v79
	v_add_f16_e32 v71, v0, v71
	v_add_f16_e32 v66, v67, v66
	v_fma_f16 v67, v48, s2, v49
	v_mul_f16_e32 v52, 0xba0c, v52
	v_add_f16_e32 v17, v23, v17
	v_add_f16_e32 v1, v7, v1
	;; [unrolled: 1-line block ×3, first 2 shown]
	v_fma_f16 v5, v45, s15, -v46
	v_add_f16_e32 v76, v80, v76
	v_mul_f16_e32 v80, 0xbbeb, v55
	v_fma_f16 v72, v45, s17, v77
	v_add_f16_e32 v66, v67, v66
	v_fma_f16 v67, v51, s19, v52
	v_mul_f16_e32 v55, 0xb482, v55
	v_add_f16_e32 v17, v27, v17
	v_add_f16_e32 v1, v15, v1
	;; [unrolled: 1-line block ×3, first 2 shown]
	v_fma_f16 v5, v48, s2, -v49
	v_add_f16_e32 v71, v72, v71
	v_fma_f16 v72, v48, s19, v78
	v_add_f16_e32 v66, v67, v66
	v_fma_f16 v67, v54, s14, v55
	v_add_f16_e32 v17, v38, v17
	v_add_f16_e32 v1, v18, v1
	v_add_f16_e32 v0, v5, v0
	v_fma_f16 v5, v51, s19, -v52
	v_add_f16_e32 v71, v72, v71
	v_fma_f16 v72, v51, s15, v79
	v_add_f16_e32 v66, v67, v66
	v_add_f16_e32 v17, v32, v17
	;; [unrolled: 1-line block ×4, first 2 shown]
	v_fma_f16 v5, v54, s14, -v55
	v_add_f16_e32 v71, v72, v71
	v_fma_f16 v72, v54, s2, v80
	v_add_f16_e32 v0, v5, v0
	v_pack_b32_f16 v1, v17, v1
	v_pack_b32_f16 v5, v66, v65
	v_fma_f16 v81, v54, s2, -v80
	v_add_f16_e32 v71, v72, v71
	ds_write2_b32 v36, v1, v5 offset1:170
	v_pack_b32_f16 v1, v56, v41
	v_pack_b32_f16 v5, v25, v34
	v_add_u32_e32 v6, 0x400, v36
	v_add_f16_e32 v76, v81, v76
	ds_write2_b32 v6, v1, v5 offset0:84 offset1:254
	v_pack_b32_f16 v1, v59, v57
	v_pack_b32_f16 v5, v71, v69
	v_add_u32_e32 v6, 0xa00, v36
	ds_write2_b32 v6, v1, v5 offset0:40 offset1:210
	v_pack_b32_f16 v1, v76, v70
	v_pack_b32_f16 v5, v64, v58
	v_add_u32_e32 v6, 0xf00, v36
	;; [unrolled: 4-line block ×3, first 2 shown]
	v_pack_b32_f16 v0, v0, v4
	ds_write2_b32 v3, v1, v2 offset0:80 offset1:250
	ds_write_b32 v36, v0 offset:6800
.LBB0_21:
	s_or_b64 exec, exec, s[4:5]
	s_waitcnt lgkmcnt(0)
	s_barrier
	s_and_b64 exec, exec, s[0:1]
	s_cbranch_execz .LBB0_23
; %bb.22:
	global_load_dword v8, v36, s[6:7]
	ds_read_b32 v9, v36
	v_mad_u64_u32 v[0:1], s[0:1], s10, v16, 0
	v_mov_b32_e32 v2, 0x7c00
	v_mad_u64_u32 v[3:4], s[0:1], s8, v37, 0
	v_mad_u64_u32 v[5:6], s[0:1], s11, v16, v[1:2]
	s_mov_b32 s14, 0xfa401186
	s_mov_b32 s15, 0x3f4185e2
	v_mad_u64_u32 v[6:7], s[0:1], s9, v37, v[4:5]
	s_waitcnt lgkmcnt(0)
	v_lshrrev_b32_e32 v7, 16, v9
	v_mov_b32_e32 v1, v5
	v_mov_b32_e32 v4, v6
	v_lshlrev_b64 v[0:1], 2, v[0:1]
	v_mov_b32_e32 v10, s13
	v_lshlrev_b64 v[3:4], 2, v[3:4]
	s_movk_i32 s16, 0x1ff
	s_movk_i32 s10, 0xffe
	;; [unrolled: 1-line block ×3, first 2 shown]
	s_mov_b32 s17, 0x8000
	s_waitcnt vmcnt(0)
	v_mul_f16_sdwa v5, v7, v8 dst_sel:DWORD dst_unused:UNUSED_PAD src0_sel:DWORD src1_sel:WORD_1
	v_fma_f16 v5, v9, v8, v5
	v_mul_f16_sdwa v6, v9, v8 dst_sel:DWORD dst_unused:UNUSED_PAD src0_sel:DWORD src1_sel:WORD_1
	v_cvt_f32_f16_e32 v5, v5
	v_fma_f16 v6, v8, v7, -v6
	v_cvt_f32_f16_e32 v7, v6
	v_add_co_u32_e32 v9, vcc, s12, v0
	v_cvt_f64_f32_e32 v[5:6], v5
	v_cvt_f64_f32_e32 v[7:8], v7
	v_addc_co_u32_e32 v10, vcc, v10, v1, vcc
	v_mul_f64 v[5:6], v[5:6], s[14:15]
	v_mul_f64 v[0:1], v[7:8], s[14:15]
	v_add_co_u32_e32 v3, vcc, v9, v3
	v_addc_co_u32_e32 v4, vcc, v10, v4, vcc
	v_and_or_b32 v5, v6, s16, v5
	v_and_or_b32 v0, v1, s16, v0
	v_cmp_ne_u32_e32 vcc, 0, v5
	v_lshrrev_b32_e32 v7, 8, v6
	v_bfe_u32 v8, v6, 20, 11
	v_cndmask_b32_e64 v5, 0, 1, vcc
	v_cmp_ne_u32_e32 vcc, 0, v0
	v_lshrrev_b32_e32 v9, 8, v1
	v_bfe_u32 v10, v1, 20, 11
	v_sub_u32_e32 v11, 0x3f1, v8
	v_cndmask_b32_e64 v0, 0, 1, vcc
	v_and_or_b32 v5, v7, s10, v5
	v_sub_u32_e32 v12, 0x3f1, v10
	v_med3_i32 v7, v11, 0, 13
	v_and_or_b32 v0, v9, s10, v0
	v_or_b32_e32 v11, 0x1000, v5
	v_add_u32_e32 v8, 0xfffffc10, v8
	v_med3_i32 v9, v12, 0, 13
	v_cmp_ne_u32_e32 vcc, 0, v5
	v_or_b32_e32 v13, 0x1000, v0
	v_lshrrev_b32_e32 v15, v7, v11
	v_add_u32_e32 v10, 0xfffffc10, v10
	v_lshl_or_b32 v12, v8, 12, v5
	v_cndmask_b32_e64 v5, 0, 1, vcc
	v_cmp_ne_u32_e32 vcc, 0, v0
	v_lshrrev_b32_e32 v16, v9, v13
	v_lshlrev_b32_e32 v7, v7, v15
	v_lshl_or_b32 v14, v10, 12, v0
	v_cndmask_b32_e64 v0, 0, 1, vcc
	v_lshlrev_b32_e32 v9, v9, v16
	v_cmp_ne_u32_e32 vcc, v7, v11
	v_cndmask_b32_e64 v7, 0, 1, vcc
	v_cmp_ne_u32_e32 vcc, v9, v13
	v_cndmask_b32_e64 v9, 0, 1, vcc
	v_or_b32_e32 v7, v15, v7
	v_cmp_gt_i32_e32 vcc, 1, v8
	v_cndmask_b32_e32 v7, v12, v7, vcc
	v_or_b32_e32 v9, v16, v9
	v_cmp_gt_i32_e32 vcc, 1, v10
	v_and_b32_e32 v11, 7, v7
	v_cndmask_b32_e32 v9, v14, v9, vcc
	v_cmp_lt_i32_e32 vcc, 5, v11
	v_cmp_eq_u32_e64 s[0:1], 3, v11
	v_lshrrev_b32_e32 v7, 2, v7
	v_and_b32_e32 v12, 7, v9
	s_or_b64 vcc, s[0:1], vcc
	v_cmp_lt_i32_e64 s[2:3], 5, v12
	v_cmp_eq_u32_e64 s[4:5], 3, v12
	v_addc_co_u32_e32 v7, vcc, 0, v7, vcc
	v_lshrrev_b32_e32 v9, 2, v9
	s_or_b64 vcc, s[4:5], s[2:3]
	v_addc_co_u32_e32 v9, vcc, 0, v9, vcc
	v_cmp_gt_i32_e32 vcc, 31, v8
	v_cndmask_b32_e32 v7, v2, v7, vcc
	v_cmp_gt_i32_e32 vcc, 31, v10
	v_lshl_or_b32 v5, v5, 9, v2
	v_cndmask_b32_e32 v9, v2, v9, vcc
	v_cmp_eq_u32_e32 vcc, s18, v8
	v_lshrrev_b32_e32 v6, 16, v6
	v_lshl_or_b32 v0, v0, 9, v2
	v_cndmask_b32_e32 v5, v7, v5, vcc
	v_cmp_eq_u32_e32 vcc, s18, v10
	v_lshrrev_b32_e32 v1, 16, v1
	v_cndmask_b32_e32 v0, v9, v0, vcc
	v_and_or_b32 v5, v6, s17, v5
	v_and_or_b32 v0, v1, s17, v0
	v_and_b32_e32 v1, 0xffff, v5
	v_lshl_or_b32 v0, v0, 16, v1
	global_store_dword v[3:4], v0, off
	global_load_dword v5, v36, s[6:7] offset:440
	ds_read2_b32 v[0:1], v36 offset0:110 offset1:220
	s_mul_i32 s0, s9, 0x1b8
	s_mul_hi_u32 s9, s8, 0x1b8
	s_mulk_i32 s8, 0x1b8
	s_add_i32 s9, s9, s0
	s_waitcnt lgkmcnt(0)
	v_lshrrev_b32_e32 v6, 16, v0
	v_add_co_u32_e32 v3, vcc, s8, v3
	s_waitcnt vmcnt(0)
	v_mul_f16_sdwa v7, v6, v5 dst_sel:DWORD dst_unused:UNUSED_PAD src0_sel:DWORD src1_sel:WORD_1
	v_fma_f16 v7, v0, v5, v7
	v_mul_f16_sdwa v0, v0, v5 dst_sel:DWORD dst_unused:UNUSED_PAD src0_sel:DWORD src1_sel:WORD_1
	v_cvt_f32_f16_e32 v7, v7
	v_fma_f16 v0, v5, v6, -v0
	v_cvt_f32_f16_e32 v0, v0
	v_cvt_f64_f32_e32 v[5:6], v7
	v_cvt_f64_f32_e32 v[7:8], v0
	v_mov_b32_e32 v0, s9
	v_mul_f64 v[5:6], v[5:6], s[14:15]
	v_addc_co_u32_e32 v4, vcc, v4, v0, vcc
	v_mul_f64 v[7:8], v[7:8], s[14:15]
	v_and_or_b32 v0, v6, s16, v5
	v_cmp_ne_u32_e32 vcc, 0, v0
	v_lshrrev_b32_e32 v5, 8, v6
	v_and_or_b32 v7, v8, s16, v7
	v_bfe_u32 v9, v6, 20, 11
	v_cndmask_b32_e64 v0, 0, 1, vcc
	v_cmp_ne_u32_e32 vcc, 0, v7
	v_lshrrev_b32_e32 v10, 8, v8
	v_bfe_u32 v11, v8, 20, 11
	v_sub_u32_e32 v12, 0x3f1, v9
	v_cndmask_b32_e64 v7, 0, 1, vcc
	v_and_or_b32 v0, v5, s10, v0
	v_sub_u32_e32 v13, 0x3f1, v11
	v_med3_i32 v5, v12, 0, 13
	v_and_or_b32 v7, v10, s10, v7
	v_or_b32_e32 v12, 0x1000, v0
	v_add_u32_e32 v9, 0xfffffc10, v9
	v_med3_i32 v10, v13, 0, 13
	v_cmp_ne_u32_e32 vcc, 0, v0
	v_or_b32_e32 v14, 0x1000, v7
	v_lshrrev_b32_e32 v16, v5, v12
	v_add_u32_e32 v11, 0xfffffc10, v11
	v_lshl_or_b32 v13, v9, 12, v0
	v_cndmask_b32_e64 v0, 0, 1, vcc
	v_cmp_ne_u32_e32 vcc, 0, v7
	v_lshrrev_b32_e32 v17, v10, v14
	v_lshlrev_b32_e32 v5, v5, v16
	v_lshl_or_b32 v15, v11, 12, v7
	v_cndmask_b32_e64 v7, 0, 1, vcc
	v_lshlrev_b32_e32 v10, v10, v17
	v_cmp_ne_u32_e32 vcc, v5, v12
	v_cndmask_b32_e64 v5, 0, 1, vcc
	v_cmp_ne_u32_e32 vcc, v10, v14
	v_cndmask_b32_e64 v10, 0, 1, vcc
	v_or_b32_e32 v5, v16, v5
	v_cmp_gt_i32_e32 vcc, 1, v9
	v_cndmask_b32_e32 v5, v13, v5, vcc
	v_or_b32_e32 v10, v17, v10
	v_cmp_gt_i32_e32 vcc, 1, v11
	v_and_b32_e32 v12, 7, v5
	v_cndmask_b32_e32 v10, v15, v10, vcc
	v_cmp_lt_i32_e32 vcc, 5, v12
	v_cmp_eq_u32_e64 s[0:1], 3, v12
	v_lshrrev_b32_e32 v5, 2, v5
	v_and_b32_e32 v13, 7, v10
	s_or_b64 vcc, s[0:1], vcc
	v_cmp_lt_i32_e64 s[2:3], 5, v13
	v_cmp_eq_u32_e64 s[4:5], 3, v13
	v_addc_co_u32_e32 v5, vcc, 0, v5, vcc
	v_lshrrev_b32_e32 v10, 2, v10
	s_or_b64 vcc, s[4:5], s[2:3]
	v_addc_co_u32_e32 v10, vcc, 0, v10, vcc
	v_cmp_gt_i32_e32 vcc, 31, v9
	v_cndmask_b32_e32 v5, v2, v5, vcc
	v_cmp_gt_i32_e32 vcc, 31, v11
	v_lshl_or_b32 v0, v0, 9, v2
	v_cndmask_b32_e32 v10, v2, v10, vcc
	v_cmp_eq_u32_e32 vcc, s18, v9
	v_lshrrev_b32_e32 v6, 16, v6
	v_lshl_or_b32 v7, v7, 9, v2
	v_cndmask_b32_e32 v0, v5, v0, vcc
	v_cmp_eq_u32_e32 vcc, s18, v11
	v_lshrrev_b32_e32 v8, 16, v8
	v_cndmask_b32_e32 v5, v10, v7, vcc
	v_and_or_b32 v0, v6, s17, v0
	v_and_or_b32 v5, v8, s17, v5
	v_and_b32_e32 v0, 0xffff, v0
	v_lshl_or_b32 v0, v5, 16, v0
	global_store_dword v[3:4], v0, off
	global_load_dword v0, v36, s[6:7] offset:880
	v_lshrrev_b32_e32 v5, 16, v1
	v_mov_b32_e32 v7, s9
	v_add_co_u32_e32 v3, vcc, s8, v3
	v_addc_co_u32_e32 v4, vcc, v4, v7, vcc
	s_waitcnt vmcnt(0)
	v_mul_f16_sdwa v6, v5, v0 dst_sel:DWORD dst_unused:UNUSED_PAD src0_sel:DWORD src1_sel:WORD_1
	v_fma_f16 v6, v1, v0, v6
	v_mul_f16_sdwa v1, v1, v0 dst_sel:DWORD dst_unused:UNUSED_PAD src0_sel:DWORD src1_sel:WORD_1
	v_cvt_f32_f16_e32 v6, v6
	v_fma_f16 v0, v0, v5, -v1
	v_cvt_f32_f16_e32 v5, v0
	v_cvt_f64_f32_e32 v[0:1], v6
	v_cvt_f64_f32_e32 v[5:6], v5
	v_mul_f64 v[0:1], v[0:1], s[14:15]
	v_mul_f64 v[5:6], v[5:6], s[14:15]
	v_and_or_b32 v0, v1, s16, v0
	v_cmp_ne_u32_e32 vcc, 0, v0
	v_and_or_b32 v5, v6, s16, v5
	v_lshrrev_b32_e32 v7, 8, v1
	v_bfe_u32 v8, v1, 20, 11
	v_cndmask_b32_e64 v0, 0, 1, vcc
	v_cmp_ne_u32_e32 vcc, 0, v5
	v_lshrrev_b32_e32 v9, 8, v6
	v_bfe_u32 v10, v6, 20, 11
	v_sub_u32_e32 v11, 0x3f1, v8
	v_cndmask_b32_e64 v5, 0, 1, vcc
	v_and_or_b32 v0, v7, s10, v0
	v_sub_u32_e32 v12, 0x3f1, v10
	v_med3_i32 v7, v11, 0, 13
	v_and_or_b32 v5, v9, s10, v5
	v_or_b32_e32 v11, 0x1000, v0
	v_add_u32_e32 v8, 0xfffffc10, v8
	v_med3_i32 v9, v12, 0, 13
	v_cmp_ne_u32_e32 vcc, 0, v0
	v_or_b32_e32 v13, 0x1000, v5
	v_lshrrev_b32_e32 v15, v7, v11
	v_add_u32_e32 v10, 0xfffffc10, v10
	v_lshl_or_b32 v12, v8, 12, v0
	v_cndmask_b32_e64 v0, 0, 1, vcc
	v_cmp_ne_u32_e32 vcc, 0, v5
	v_lshrrev_b32_e32 v16, v9, v13
	v_lshlrev_b32_e32 v7, v7, v15
	v_lshl_or_b32 v14, v10, 12, v5
	v_cndmask_b32_e64 v5, 0, 1, vcc
	v_lshlrev_b32_e32 v9, v9, v16
	v_cmp_ne_u32_e32 vcc, v7, v11
	v_cndmask_b32_e64 v7, 0, 1, vcc
	v_cmp_ne_u32_e32 vcc, v9, v13
	v_cndmask_b32_e64 v9, 0, 1, vcc
	v_or_b32_e32 v7, v15, v7
	v_cmp_gt_i32_e32 vcc, 1, v8
	v_cndmask_b32_e32 v7, v12, v7, vcc
	v_or_b32_e32 v9, v16, v9
	v_cmp_gt_i32_e32 vcc, 1, v10
	v_and_b32_e32 v11, 7, v7
	v_cndmask_b32_e32 v9, v14, v9, vcc
	v_cmp_lt_i32_e32 vcc, 5, v11
	v_cmp_eq_u32_e64 s[0:1], 3, v11
	v_lshrrev_b32_e32 v7, 2, v7
	v_and_b32_e32 v12, 7, v9
	s_or_b64 vcc, s[0:1], vcc
	v_cmp_lt_i32_e64 s[2:3], 5, v12
	v_cmp_eq_u32_e64 s[4:5], 3, v12
	v_addc_co_u32_e32 v7, vcc, 0, v7, vcc
	v_lshrrev_b32_e32 v9, 2, v9
	s_or_b64 vcc, s[4:5], s[2:3]
	v_addc_co_u32_e32 v9, vcc, 0, v9, vcc
	v_cmp_gt_i32_e32 vcc, 31, v8
	v_cndmask_b32_e32 v7, v2, v7, vcc
	v_cmp_gt_i32_e32 vcc, 31, v10
	v_lshl_or_b32 v0, v0, 9, v2
	v_cndmask_b32_e32 v9, v2, v9, vcc
	v_cmp_eq_u32_e32 vcc, s18, v8
	v_lshrrev_b32_e32 v1, 16, v1
	v_lshl_or_b32 v5, v5, 9, v2
	v_cndmask_b32_e32 v0, v7, v0, vcc
	v_cmp_eq_u32_e32 vcc, s18, v10
	v_lshrrev_b32_e32 v6, 16, v6
	v_cndmask_b32_e32 v5, v9, v5, vcc
	v_and_or_b32 v0, v1, s17, v0
	v_and_or_b32 v1, v6, s17, v5
	v_and_b32_e32 v0, 0xffff, v0
	v_lshl_or_b32 v0, v1, 16, v0
	global_store_dword v[3:4], v0, off
	global_load_dword v5, v36, s[6:7] offset:1320
	v_add_u32_e32 v0, 0x400, v36
	ds_read2_b32 v[0:1], v0 offset0:74 offset1:184
	v_add_co_u32_e32 v3, vcc, s8, v3
	s_waitcnt lgkmcnt(0)
	v_lshrrev_b32_e32 v6, 16, v0
	s_waitcnt vmcnt(0)
	v_mul_f16_sdwa v7, v6, v5 dst_sel:DWORD dst_unused:UNUSED_PAD src0_sel:DWORD src1_sel:WORD_1
	v_fma_f16 v7, v0, v5, v7
	v_mul_f16_sdwa v0, v0, v5 dst_sel:DWORD dst_unused:UNUSED_PAD src0_sel:DWORD src1_sel:WORD_1
	v_cvt_f32_f16_e32 v7, v7
	v_fma_f16 v0, v5, v6, -v0
	v_cvt_f32_f16_e32 v0, v0
	v_cvt_f64_f32_e32 v[5:6], v7
	v_cvt_f64_f32_e32 v[7:8], v0
	v_mov_b32_e32 v0, s9
	v_mul_f64 v[5:6], v[5:6], s[14:15]
	v_addc_co_u32_e32 v4, vcc, v4, v0, vcc
	v_mul_f64 v[7:8], v[7:8], s[14:15]
	v_and_or_b32 v0, v6, s16, v5
	v_cmp_ne_u32_e32 vcc, 0, v0
	v_lshrrev_b32_e32 v5, 8, v6
	v_and_or_b32 v7, v8, s16, v7
	v_bfe_u32 v9, v6, 20, 11
	v_cndmask_b32_e64 v0, 0, 1, vcc
	v_cmp_ne_u32_e32 vcc, 0, v7
	v_lshrrev_b32_e32 v10, 8, v8
	v_bfe_u32 v11, v8, 20, 11
	v_sub_u32_e32 v12, 0x3f1, v9
	v_cndmask_b32_e64 v7, 0, 1, vcc
	v_and_or_b32 v0, v5, s10, v0
	v_sub_u32_e32 v13, 0x3f1, v11
	v_med3_i32 v5, v12, 0, 13
	v_and_or_b32 v7, v10, s10, v7
	v_or_b32_e32 v12, 0x1000, v0
	v_add_u32_e32 v9, 0xfffffc10, v9
	v_med3_i32 v10, v13, 0, 13
	v_cmp_ne_u32_e32 vcc, 0, v0
	v_or_b32_e32 v14, 0x1000, v7
	v_lshrrev_b32_e32 v16, v5, v12
	v_add_u32_e32 v11, 0xfffffc10, v11
	v_lshl_or_b32 v13, v9, 12, v0
	v_cndmask_b32_e64 v0, 0, 1, vcc
	v_cmp_ne_u32_e32 vcc, 0, v7
	v_lshrrev_b32_e32 v17, v10, v14
	v_lshlrev_b32_e32 v5, v5, v16
	v_lshl_or_b32 v15, v11, 12, v7
	v_cndmask_b32_e64 v7, 0, 1, vcc
	v_lshlrev_b32_e32 v10, v10, v17
	v_cmp_ne_u32_e32 vcc, v5, v12
	v_cndmask_b32_e64 v5, 0, 1, vcc
	v_cmp_ne_u32_e32 vcc, v10, v14
	v_cndmask_b32_e64 v10, 0, 1, vcc
	v_or_b32_e32 v5, v16, v5
	v_cmp_gt_i32_e32 vcc, 1, v9
	v_cndmask_b32_e32 v5, v13, v5, vcc
	v_or_b32_e32 v10, v17, v10
	v_cmp_gt_i32_e32 vcc, 1, v11
	v_and_b32_e32 v12, 7, v5
	v_cndmask_b32_e32 v10, v15, v10, vcc
	v_cmp_lt_i32_e32 vcc, 5, v12
	v_cmp_eq_u32_e64 s[0:1], 3, v12
	v_lshrrev_b32_e32 v5, 2, v5
	v_and_b32_e32 v13, 7, v10
	s_or_b64 vcc, s[0:1], vcc
	v_cmp_lt_i32_e64 s[2:3], 5, v13
	v_cmp_eq_u32_e64 s[4:5], 3, v13
	v_addc_co_u32_e32 v5, vcc, 0, v5, vcc
	v_lshrrev_b32_e32 v10, 2, v10
	s_or_b64 vcc, s[4:5], s[2:3]
	v_addc_co_u32_e32 v10, vcc, 0, v10, vcc
	v_cmp_gt_i32_e32 vcc, 31, v9
	v_cndmask_b32_e32 v5, v2, v5, vcc
	v_cmp_gt_i32_e32 vcc, 31, v11
	v_lshl_or_b32 v0, v0, 9, v2
	v_cndmask_b32_e32 v10, v2, v10, vcc
	v_cmp_eq_u32_e32 vcc, s18, v9
	v_lshrrev_b32_e32 v6, 16, v6
	v_lshl_or_b32 v7, v7, 9, v2
	v_cndmask_b32_e32 v0, v5, v0, vcc
	v_cmp_eq_u32_e32 vcc, s18, v11
	v_lshrrev_b32_e32 v8, 16, v8
	v_cndmask_b32_e32 v5, v10, v7, vcc
	v_and_or_b32 v0, v6, s17, v0
	v_and_or_b32 v5, v8, s17, v5
	v_and_b32_e32 v0, 0xffff, v0
	v_lshl_or_b32 v0, v5, 16, v0
	global_store_dword v[3:4], v0, off
	global_load_dword v0, v36, s[6:7] offset:1760
	v_lshrrev_b32_e32 v5, 16, v1
	v_mov_b32_e32 v7, s9
	v_add_co_u32_e32 v3, vcc, s8, v3
	v_addc_co_u32_e32 v4, vcc, v4, v7, vcc
	s_waitcnt vmcnt(0)
	v_mul_f16_sdwa v6, v5, v0 dst_sel:DWORD dst_unused:UNUSED_PAD src0_sel:DWORD src1_sel:WORD_1
	v_fma_f16 v6, v1, v0, v6
	v_mul_f16_sdwa v1, v1, v0 dst_sel:DWORD dst_unused:UNUSED_PAD src0_sel:DWORD src1_sel:WORD_1
	v_cvt_f32_f16_e32 v6, v6
	v_fma_f16 v0, v0, v5, -v1
	v_cvt_f32_f16_e32 v5, v0
	v_cvt_f64_f32_e32 v[0:1], v6
	v_cvt_f64_f32_e32 v[5:6], v5
	v_mul_f64 v[0:1], v[0:1], s[14:15]
	v_mul_f64 v[5:6], v[5:6], s[14:15]
	v_and_or_b32 v0, v1, s16, v0
	v_cmp_ne_u32_e32 vcc, 0, v0
	v_and_or_b32 v5, v6, s16, v5
	v_lshrrev_b32_e32 v7, 8, v1
	v_bfe_u32 v8, v1, 20, 11
	v_cndmask_b32_e64 v0, 0, 1, vcc
	v_cmp_ne_u32_e32 vcc, 0, v5
	v_lshrrev_b32_e32 v9, 8, v6
	v_bfe_u32 v10, v6, 20, 11
	v_sub_u32_e32 v11, 0x3f1, v8
	v_cndmask_b32_e64 v5, 0, 1, vcc
	v_and_or_b32 v0, v7, s10, v0
	v_sub_u32_e32 v12, 0x3f1, v10
	v_med3_i32 v7, v11, 0, 13
	v_and_or_b32 v5, v9, s10, v5
	v_or_b32_e32 v11, 0x1000, v0
	v_add_u32_e32 v8, 0xfffffc10, v8
	v_med3_i32 v9, v12, 0, 13
	v_cmp_ne_u32_e32 vcc, 0, v0
	v_or_b32_e32 v13, 0x1000, v5
	v_lshrrev_b32_e32 v15, v7, v11
	v_add_u32_e32 v10, 0xfffffc10, v10
	v_lshl_or_b32 v12, v8, 12, v0
	v_cndmask_b32_e64 v0, 0, 1, vcc
	v_cmp_ne_u32_e32 vcc, 0, v5
	v_lshrrev_b32_e32 v16, v9, v13
	v_lshlrev_b32_e32 v7, v7, v15
	v_lshl_or_b32 v14, v10, 12, v5
	v_cndmask_b32_e64 v5, 0, 1, vcc
	v_lshlrev_b32_e32 v9, v9, v16
	v_cmp_ne_u32_e32 vcc, v7, v11
	v_cndmask_b32_e64 v7, 0, 1, vcc
	v_cmp_ne_u32_e32 vcc, v9, v13
	v_cndmask_b32_e64 v9, 0, 1, vcc
	v_or_b32_e32 v7, v15, v7
	v_cmp_gt_i32_e32 vcc, 1, v8
	v_cndmask_b32_e32 v7, v12, v7, vcc
	v_or_b32_e32 v9, v16, v9
	v_cmp_gt_i32_e32 vcc, 1, v10
	v_and_b32_e32 v11, 7, v7
	v_cndmask_b32_e32 v9, v14, v9, vcc
	v_cmp_lt_i32_e32 vcc, 5, v11
	v_cmp_eq_u32_e64 s[0:1], 3, v11
	v_lshrrev_b32_e32 v7, 2, v7
	v_and_b32_e32 v12, 7, v9
	s_or_b64 vcc, s[0:1], vcc
	v_cmp_lt_i32_e64 s[2:3], 5, v12
	v_cmp_eq_u32_e64 s[4:5], 3, v12
	v_addc_co_u32_e32 v7, vcc, 0, v7, vcc
	v_lshrrev_b32_e32 v9, 2, v9
	s_or_b64 vcc, s[4:5], s[2:3]
	v_addc_co_u32_e32 v9, vcc, 0, v9, vcc
	v_cmp_gt_i32_e32 vcc, 31, v8
	v_cndmask_b32_e32 v7, v2, v7, vcc
	v_cmp_gt_i32_e32 vcc, 31, v10
	v_lshl_or_b32 v0, v0, 9, v2
	v_cndmask_b32_e32 v9, v2, v9, vcc
	v_cmp_eq_u32_e32 vcc, s18, v8
	v_lshrrev_b32_e32 v1, 16, v1
	v_lshl_or_b32 v5, v5, 9, v2
	v_cndmask_b32_e32 v0, v7, v0, vcc
	v_cmp_eq_u32_e32 vcc, s18, v10
	v_lshrrev_b32_e32 v6, 16, v6
	v_cndmask_b32_e32 v5, v9, v5, vcc
	v_and_or_b32 v0, v1, s17, v0
	v_and_or_b32 v1, v6, s17, v5
	v_and_b32_e32 v0, 0xffff, v0
	v_lshl_or_b32 v0, v1, 16, v0
	global_store_dword v[3:4], v0, off
	global_load_dword v5, v36, s[6:7] offset:2200
	v_add_u32_e32 v0, 0x800, v36
	ds_read2_b32 v[0:1], v0 offset0:38 offset1:148
	v_add_co_u32_e32 v3, vcc, s8, v3
	s_waitcnt lgkmcnt(0)
	v_lshrrev_b32_e32 v6, 16, v0
	s_waitcnt vmcnt(0)
	v_mul_f16_sdwa v7, v6, v5 dst_sel:DWORD dst_unused:UNUSED_PAD src0_sel:DWORD src1_sel:WORD_1
	v_fma_f16 v7, v0, v5, v7
	v_mul_f16_sdwa v0, v0, v5 dst_sel:DWORD dst_unused:UNUSED_PAD src0_sel:DWORD src1_sel:WORD_1
	v_cvt_f32_f16_e32 v7, v7
	v_fma_f16 v0, v5, v6, -v0
	v_cvt_f32_f16_e32 v0, v0
	v_cvt_f64_f32_e32 v[5:6], v7
	v_cvt_f64_f32_e32 v[7:8], v0
	v_mov_b32_e32 v0, s9
	v_mul_f64 v[5:6], v[5:6], s[14:15]
	v_addc_co_u32_e32 v4, vcc, v4, v0, vcc
	v_mul_f64 v[7:8], v[7:8], s[14:15]
	v_and_or_b32 v0, v6, s16, v5
	v_cmp_ne_u32_e32 vcc, 0, v0
	v_lshrrev_b32_e32 v5, 8, v6
	v_and_or_b32 v7, v8, s16, v7
	v_bfe_u32 v9, v6, 20, 11
	v_cndmask_b32_e64 v0, 0, 1, vcc
	v_cmp_ne_u32_e32 vcc, 0, v7
	v_lshrrev_b32_e32 v10, 8, v8
	v_bfe_u32 v11, v8, 20, 11
	v_sub_u32_e32 v12, 0x3f1, v9
	v_cndmask_b32_e64 v7, 0, 1, vcc
	v_and_or_b32 v0, v5, s10, v0
	v_sub_u32_e32 v13, 0x3f1, v11
	v_med3_i32 v5, v12, 0, 13
	v_and_or_b32 v7, v10, s10, v7
	v_or_b32_e32 v12, 0x1000, v0
	v_add_u32_e32 v9, 0xfffffc10, v9
	v_med3_i32 v10, v13, 0, 13
	v_cmp_ne_u32_e32 vcc, 0, v0
	v_or_b32_e32 v14, 0x1000, v7
	v_lshrrev_b32_e32 v16, v5, v12
	v_add_u32_e32 v11, 0xfffffc10, v11
	v_lshl_or_b32 v13, v9, 12, v0
	v_cndmask_b32_e64 v0, 0, 1, vcc
	v_cmp_ne_u32_e32 vcc, 0, v7
	v_lshrrev_b32_e32 v17, v10, v14
	v_lshlrev_b32_e32 v5, v5, v16
	v_lshl_or_b32 v15, v11, 12, v7
	v_cndmask_b32_e64 v7, 0, 1, vcc
	v_lshlrev_b32_e32 v10, v10, v17
	v_cmp_ne_u32_e32 vcc, v5, v12
	v_cndmask_b32_e64 v5, 0, 1, vcc
	v_cmp_ne_u32_e32 vcc, v10, v14
	v_cndmask_b32_e64 v10, 0, 1, vcc
	v_or_b32_e32 v5, v16, v5
	v_cmp_gt_i32_e32 vcc, 1, v9
	v_cndmask_b32_e32 v5, v13, v5, vcc
	v_or_b32_e32 v10, v17, v10
	v_cmp_gt_i32_e32 vcc, 1, v11
	v_and_b32_e32 v12, 7, v5
	v_cndmask_b32_e32 v10, v15, v10, vcc
	v_cmp_lt_i32_e32 vcc, 5, v12
	v_cmp_eq_u32_e64 s[0:1], 3, v12
	v_lshrrev_b32_e32 v5, 2, v5
	v_and_b32_e32 v13, 7, v10
	s_or_b64 vcc, s[0:1], vcc
	v_cmp_lt_i32_e64 s[2:3], 5, v13
	v_cmp_eq_u32_e64 s[4:5], 3, v13
	v_addc_co_u32_e32 v5, vcc, 0, v5, vcc
	v_lshrrev_b32_e32 v10, 2, v10
	s_or_b64 vcc, s[4:5], s[2:3]
	v_addc_co_u32_e32 v10, vcc, 0, v10, vcc
	v_cmp_gt_i32_e32 vcc, 31, v9
	v_cndmask_b32_e32 v5, v2, v5, vcc
	v_cmp_gt_i32_e32 vcc, 31, v11
	v_lshl_or_b32 v0, v0, 9, v2
	v_cndmask_b32_e32 v10, v2, v10, vcc
	v_cmp_eq_u32_e32 vcc, s18, v9
	v_lshrrev_b32_e32 v6, 16, v6
	v_lshl_or_b32 v7, v7, 9, v2
	v_cndmask_b32_e32 v0, v5, v0, vcc
	v_cmp_eq_u32_e32 vcc, s18, v11
	v_lshrrev_b32_e32 v8, 16, v8
	v_cndmask_b32_e32 v5, v10, v7, vcc
	v_and_or_b32 v0, v6, s17, v0
	v_and_or_b32 v5, v8, s17, v5
	v_and_b32_e32 v0, 0xffff, v0
	v_lshl_or_b32 v0, v5, 16, v0
	global_store_dword v[3:4], v0, off
	global_load_dword v0, v36, s[6:7] offset:2640
	v_lshrrev_b32_e32 v5, 16, v1
	v_mov_b32_e32 v7, s9
	v_add_co_u32_e32 v3, vcc, s8, v3
	v_addc_co_u32_e32 v4, vcc, v4, v7, vcc
	s_waitcnt vmcnt(0)
	v_mul_f16_sdwa v6, v5, v0 dst_sel:DWORD dst_unused:UNUSED_PAD src0_sel:DWORD src1_sel:WORD_1
	v_fma_f16 v6, v1, v0, v6
	v_mul_f16_sdwa v1, v1, v0 dst_sel:DWORD dst_unused:UNUSED_PAD src0_sel:DWORD src1_sel:WORD_1
	v_cvt_f32_f16_e32 v6, v6
	v_fma_f16 v0, v0, v5, -v1
	v_cvt_f32_f16_e32 v5, v0
	v_cvt_f64_f32_e32 v[0:1], v6
	v_cvt_f64_f32_e32 v[5:6], v5
	v_mul_f64 v[0:1], v[0:1], s[14:15]
	v_mul_f64 v[5:6], v[5:6], s[14:15]
	v_and_or_b32 v0, v1, s16, v0
	v_cmp_ne_u32_e32 vcc, 0, v0
	v_and_or_b32 v5, v6, s16, v5
	v_lshrrev_b32_e32 v7, 8, v1
	v_bfe_u32 v8, v1, 20, 11
	v_cndmask_b32_e64 v0, 0, 1, vcc
	v_cmp_ne_u32_e32 vcc, 0, v5
	v_lshrrev_b32_e32 v9, 8, v6
	v_bfe_u32 v10, v6, 20, 11
	v_sub_u32_e32 v11, 0x3f1, v8
	v_cndmask_b32_e64 v5, 0, 1, vcc
	v_and_or_b32 v0, v7, s10, v0
	v_sub_u32_e32 v12, 0x3f1, v10
	v_med3_i32 v7, v11, 0, 13
	v_and_or_b32 v5, v9, s10, v5
	v_or_b32_e32 v11, 0x1000, v0
	v_add_u32_e32 v8, 0xfffffc10, v8
	v_med3_i32 v9, v12, 0, 13
	v_cmp_ne_u32_e32 vcc, 0, v0
	v_or_b32_e32 v13, 0x1000, v5
	v_lshrrev_b32_e32 v15, v7, v11
	v_add_u32_e32 v10, 0xfffffc10, v10
	v_lshl_or_b32 v12, v8, 12, v0
	v_cndmask_b32_e64 v0, 0, 1, vcc
	v_cmp_ne_u32_e32 vcc, 0, v5
	v_lshrrev_b32_e32 v16, v9, v13
	v_lshlrev_b32_e32 v7, v7, v15
	v_lshl_or_b32 v14, v10, 12, v5
	v_cndmask_b32_e64 v5, 0, 1, vcc
	v_lshlrev_b32_e32 v9, v9, v16
	v_cmp_ne_u32_e32 vcc, v7, v11
	v_cndmask_b32_e64 v7, 0, 1, vcc
	v_cmp_ne_u32_e32 vcc, v9, v13
	v_cndmask_b32_e64 v9, 0, 1, vcc
	v_or_b32_e32 v7, v15, v7
	v_cmp_gt_i32_e32 vcc, 1, v8
	v_cndmask_b32_e32 v7, v12, v7, vcc
	v_or_b32_e32 v9, v16, v9
	v_cmp_gt_i32_e32 vcc, 1, v10
	v_and_b32_e32 v11, 7, v7
	v_cndmask_b32_e32 v9, v14, v9, vcc
	v_cmp_lt_i32_e32 vcc, 5, v11
	v_cmp_eq_u32_e64 s[0:1], 3, v11
	v_lshrrev_b32_e32 v7, 2, v7
	v_and_b32_e32 v12, 7, v9
	s_or_b64 vcc, s[0:1], vcc
	v_cmp_lt_i32_e64 s[2:3], 5, v12
	v_cmp_eq_u32_e64 s[4:5], 3, v12
	v_addc_co_u32_e32 v7, vcc, 0, v7, vcc
	v_lshrrev_b32_e32 v9, 2, v9
	s_or_b64 vcc, s[4:5], s[2:3]
	v_addc_co_u32_e32 v9, vcc, 0, v9, vcc
	v_cmp_gt_i32_e32 vcc, 31, v8
	v_cndmask_b32_e32 v7, v2, v7, vcc
	v_cmp_gt_i32_e32 vcc, 31, v10
	v_lshl_or_b32 v0, v0, 9, v2
	v_cndmask_b32_e32 v9, v2, v9, vcc
	v_cmp_eq_u32_e32 vcc, s18, v8
	v_lshrrev_b32_e32 v1, 16, v1
	v_lshl_or_b32 v5, v5, 9, v2
	v_cndmask_b32_e32 v0, v7, v0, vcc
	v_cmp_eq_u32_e32 vcc, s18, v10
	v_lshrrev_b32_e32 v6, 16, v6
	v_cndmask_b32_e32 v5, v9, v5, vcc
	v_and_or_b32 v0, v1, s17, v0
	v_and_or_b32 v1, v6, s17, v5
	v_and_b32_e32 v0, 0xffff, v0
	v_lshl_or_b32 v0, v1, 16, v0
	global_store_dword v[3:4], v0, off
	global_load_dword v5, v36, s[6:7] offset:3080
	v_add_u32_e32 v0, 0xc00, v36
	ds_read2_b32 v[0:1], v0 offset0:2 offset1:112
	v_add_co_u32_e32 v3, vcc, s8, v3
	s_waitcnt lgkmcnt(0)
	v_lshrrev_b32_e32 v6, 16, v0
	s_waitcnt vmcnt(0)
	v_mul_f16_sdwa v7, v6, v5 dst_sel:DWORD dst_unused:UNUSED_PAD src0_sel:DWORD src1_sel:WORD_1
	v_fma_f16 v7, v0, v5, v7
	v_mul_f16_sdwa v0, v0, v5 dst_sel:DWORD dst_unused:UNUSED_PAD src0_sel:DWORD src1_sel:WORD_1
	v_cvt_f32_f16_e32 v7, v7
	v_fma_f16 v0, v5, v6, -v0
	v_cvt_f32_f16_e32 v0, v0
	v_cvt_f64_f32_e32 v[5:6], v7
	v_cvt_f64_f32_e32 v[7:8], v0
	v_mov_b32_e32 v0, s9
	v_mul_f64 v[5:6], v[5:6], s[14:15]
	v_addc_co_u32_e32 v4, vcc, v4, v0, vcc
	v_mul_f64 v[7:8], v[7:8], s[14:15]
	v_and_or_b32 v0, v6, s16, v5
	v_cmp_ne_u32_e32 vcc, 0, v0
	v_lshrrev_b32_e32 v5, 8, v6
	v_and_or_b32 v7, v8, s16, v7
	v_bfe_u32 v9, v6, 20, 11
	v_cndmask_b32_e64 v0, 0, 1, vcc
	v_cmp_ne_u32_e32 vcc, 0, v7
	v_lshrrev_b32_e32 v10, 8, v8
	v_bfe_u32 v11, v8, 20, 11
	v_sub_u32_e32 v12, 0x3f1, v9
	v_cndmask_b32_e64 v7, 0, 1, vcc
	v_and_or_b32 v0, v5, s10, v0
	v_sub_u32_e32 v13, 0x3f1, v11
	v_med3_i32 v5, v12, 0, 13
	v_and_or_b32 v7, v10, s10, v7
	v_or_b32_e32 v12, 0x1000, v0
	v_add_u32_e32 v9, 0xfffffc10, v9
	v_med3_i32 v10, v13, 0, 13
	v_cmp_ne_u32_e32 vcc, 0, v0
	v_or_b32_e32 v14, 0x1000, v7
	v_lshrrev_b32_e32 v16, v5, v12
	v_add_u32_e32 v11, 0xfffffc10, v11
	v_lshl_or_b32 v13, v9, 12, v0
	v_cndmask_b32_e64 v0, 0, 1, vcc
	v_cmp_ne_u32_e32 vcc, 0, v7
	v_lshrrev_b32_e32 v17, v10, v14
	v_lshlrev_b32_e32 v5, v5, v16
	v_lshl_or_b32 v15, v11, 12, v7
	v_cndmask_b32_e64 v7, 0, 1, vcc
	v_lshlrev_b32_e32 v10, v10, v17
	v_cmp_ne_u32_e32 vcc, v5, v12
	v_cndmask_b32_e64 v5, 0, 1, vcc
	v_cmp_ne_u32_e32 vcc, v10, v14
	v_cndmask_b32_e64 v10, 0, 1, vcc
	v_or_b32_e32 v5, v16, v5
	v_cmp_gt_i32_e32 vcc, 1, v9
	v_cndmask_b32_e32 v5, v13, v5, vcc
	v_or_b32_e32 v10, v17, v10
	v_cmp_gt_i32_e32 vcc, 1, v11
	v_and_b32_e32 v12, 7, v5
	v_cndmask_b32_e32 v10, v15, v10, vcc
	v_cmp_lt_i32_e32 vcc, 5, v12
	v_cmp_eq_u32_e64 s[0:1], 3, v12
	v_lshrrev_b32_e32 v5, 2, v5
	v_and_b32_e32 v13, 7, v10
	s_or_b64 vcc, s[0:1], vcc
	v_cmp_lt_i32_e64 s[2:3], 5, v13
	v_cmp_eq_u32_e64 s[4:5], 3, v13
	v_addc_co_u32_e32 v5, vcc, 0, v5, vcc
	v_lshrrev_b32_e32 v10, 2, v10
	s_or_b64 vcc, s[4:5], s[2:3]
	v_addc_co_u32_e32 v10, vcc, 0, v10, vcc
	v_cmp_gt_i32_e32 vcc, 31, v9
	v_cndmask_b32_e32 v5, v2, v5, vcc
	v_cmp_gt_i32_e32 vcc, 31, v11
	v_lshl_or_b32 v0, v0, 9, v2
	v_cndmask_b32_e32 v10, v2, v10, vcc
	v_cmp_eq_u32_e32 vcc, s18, v9
	v_lshrrev_b32_e32 v6, 16, v6
	v_lshl_or_b32 v7, v7, 9, v2
	v_cndmask_b32_e32 v0, v5, v0, vcc
	v_cmp_eq_u32_e32 vcc, s18, v11
	v_lshrrev_b32_e32 v8, 16, v8
	v_cndmask_b32_e32 v5, v10, v7, vcc
	v_and_or_b32 v0, v6, s17, v0
	v_and_or_b32 v5, v8, s17, v5
	v_and_b32_e32 v0, 0xffff, v0
	v_lshl_or_b32 v0, v5, 16, v0
	global_store_dword v[3:4], v0, off
	global_load_dword v0, v36, s[6:7] offset:3520
	v_lshrrev_b32_e32 v5, 16, v1
	v_mov_b32_e32 v7, s9
	v_add_co_u32_e32 v3, vcc, s8, v3
	v_addc_co_u32_e32 v4, vcc, v4, v7, vcc
	s_waitcnt vmcnt(0)
	v_mul_f16_sdwa v6, v5, v0 dst_sel:DWORD dst_unused:UNUSED_PAD src0_sel:DWORD src1_sel:WORD_1
	v_fma_f16 v6, v1, v0, v6
	v_mul_f16_sdwa v1, v1, v0 dst_sel:DWORD dst_unused:UNUSED_PAD src0_sel:DWORD src1_sel:WORD_1
	v_cvt_f32_f16_e32 v6, v6
	v_fma_f16 v0, v0, v5, -v1
	v_cvt_f32_f16_e32 v5, v0
	v_cvt_f64_f32_e32 v[0:1], v6
	v_cvt_f64_f32_e32 v[5:6], v5
	v_mul_f64 v[0:1], v[0:1], s[14:15]
	v_mul_f64 v[5:6], v[5:6], s[14:15]
	v_and_or_b32 v0, v1, s16, v0
	v_cmp_ne_u32_e32 vcc, 0, v0
	v_and_or_b32 v5, v6, s16, v5
	v_lshrrev_b32_e32 v7, 8, v1
	v_bfe_u32 v8, v1, 20, 11
	v_cndmask_b32_e64 v0, 0, 1, vcc
	v_cmp_ne_u32_e32 vcc, 0, v5
	v_lshrrev_b32_e32 v9, 8, v6
	v_bfe_u32 v10, v6, 20, 11
	v_sub_u32_e32 v11, 0x3f1, v8
	v_cndmask_b32_e64 v5, 0, 1, vcc
	v_and_or_b32 v0, v7, s10, v0
	v_sub_u32_e32 v12, 0x3f1, v10
	v_med3_i32 v7, v11, 0, 13
	v_and_or_b32 v5, v9, s10, v5
	v_or_b32_e32 v11, 0x1000, v0
	v_add_u32_e32 v8, 0xfffffc10, v8
	v_med3_i32 v9, v12, 0, 13
	v_cmp_ne_u32_e32 vcc, 0, v0
	v_or_b32_e32 v13, 0x1000, v5
	v_lshrrev_b32_e32 v15, v7, v11
	v_add_u32_e32 v10, 0xfffffc10, v10
	v_lshl_or_b32 v12, v8, 12, v0
	v_cndmask_b32_e64 v0, 0, 1, vcc
	v_cmp_ne_u32_e32 vcc, 0, v5
	v_lshrrev_b32_e32 v16, v9, v13
	v_lshlrev_b32_e32 v7, v7, v15
	v_lshl_or_b32 v14, v10, 12, v5
	v_cndmask_b32_e64 v5, 0, 1, vcc
	v_lshlrev_b32_e32 v9, v9, v16
	v_cmp_ne_u32_e32 vcc, v7, v11
	v_cndmask_b32_e64 v7, 0, 1, vcc
	v_cmp_ne_u32_e32 vcc, v9, v13
	v_cndmask_b32_e64 v9, 0, 1, vcc
	v_or_b32_e32 v7, v15, v7
	v_cmp_gt_i32_e32 vcc, 1, v8
	v_cndmask_b32_e32 v7, v12, v7, vcc
	v_or_b32_e32 v9, v16, v9
	v_cmp_gt_i32_e32 vcc, 1, v10
	v_and_b32_e32 v11, 7, v7
	v_cndmask_b32_e32 v9, v14, v9, vcc
	v_cmp_lt_i32_e32 vcc, 5, v11
	v_cmp_eq_u32_e64 s[0:1], 3, v11
	v_lshrrev_b32_e32 v7, 2, v7
	v_and_b32_e32 v12, 7, v9
	s_or_b64 vcc, s[0:1], vcc
	v_cmp_lt_i32_e64 s[2:3], 5, v12
	v_cmp_eq_u32_e64 s[4:5], 3, v12
	v_addc_co_u32_e32 v7, vcc, 0, v7, vcc
	v_lshrrev_b32_e32 v9, 2, v9
	s_or_b64 vcc, s[4:5], s[2:3]
	v_addc_co_u32_e32 v9, vcc, 0, v9, vcc
	v_cmp_gt_i32_e32 vcc, 31, v8
	v_cndmask_b32_e32 v7, v2, v7, vcc
	v_cmp_gt_i32_e32 vcc, 31, v10
	v_lshl_or_b32 v0, v0, 9, v2
	v_cndmask_b32_e32 v9, v2, v9, vcc
	v_cmp_eq_u32_e32 vcc, s18, v8
	v_lshrrev_b32_e32 v1, 16, v1
	v_lshl_or_b32 v5, v5, 9, v2
	v_cndmask_b32_e32 v0, v7, v0, vcc
	v_cmp_eq_u32_e32 vcc, s18, v10
	v_lshrrev_b32_e32 v6, 16, v6
	v_cndmask_b32_e32 v5, v9, v5, vcc
	v_and_or_b32 v0, v1, s17, v0
	v_and_or_b32 v1, v6, s17, v5
	v_and_b32_e32 v0, 0xffff, v0
	v_lshl_or_b32 v0, v1, 16, v0
	global_store_dword v[3:4], v0, off
	global_load_dword v0, v36, s[6:7] offset:3960
	v_add_u32_e32 v1, 0xe00, v36
	ds_read2_b32 v[5:6], v1 offset0:94 offset1:204
	v_mov_b32_e32 v7, s7
	v_add_co_u32_e32 v11, vcc, s6, v36
	v_addc_co_u32_e32 v12, vcc, 0, v7, vcc
	s_waitcnt lgkmcnt(0)
	v_lshrrev_b32_e32 v1, 16, v5
	s_movk_i32 s0, 0x1000
	v_mov_b32_e32 v13, s9
	s_waitcnt vmcnt(0)
	v_mul_f16_sdwa v8, v1, v0 dst_sel:DWORD dst_unused:UNUSED_PAD src0_sel:DWORD src1_sel:WORD_1
	v_fma_f16 v8, v5, v0, v8
	v_mul_f16_sdwa v5, v5, v0 dst_sel:DWORD dst_unused:UNUSED_PAD src0_sel:DWORD src1_sel:WORD_1
	v_cvt_f32_f16_e32 v8, v8
	v_fma_f16 v0, v0, v1, -v5
	v_cvt_f32_f16_e32 v5, v0
	v_cvt_f64_f32_e32 v[0:1], v8
	v_cvt_f64_f32_e32 v[7:8], v5
	v_mul_f64 v[9:10], v[0:1], s[14:15]
	v_add_co_u32_e32 v0, vcc, s0, v11
	v_mul_f64 v[7:8], v[7:8], s[14:15]
	v_addc_co_u32_e32 v1, vcc, 0, v12, vcc
	v_add_co_u32_e32 v3, vcc, s8, v3
	v_addc_co_u32_e32 v4, vcc, v4, v13, vcc
	v_and_or_b32 v5, v10, s16, v9
	v_and_or_b32 v7, v8, s16, v7
	v_cmp_ne_u32_e32 vcc, 0, v5
	v_lshrrev_b32_e32 v9, 8, v10
	v_bfe_u32 v11, v10, 20, 11
	v_cndmask_b32_e64 v5, 0, 1, vcc
	v_cmp_ne_u32_e32 vcc, 0, v7
	v_lshrrev_b32_e32 v12, 8, v8
	v_bfe_u32 v13, v8, 20, 11
	v_sub_u32_e32 v14, 0x3f1, v11
	v_cndmask_b32_e64 v7, 0, 1, vcc
	v_and_or_b32 v5, v9, s10, v5
	v_sub_u32_e32 v15, 0x3f1, v13
	v_med3_i32 v9, v14, 0, 13
	v_and_or_b32 v7, v12, s10, v7
	v_or_b32_e32 v14, 0x1000, v5
	v_add_u32_e32 v11, 0xfffffc10, v11
	v_med3_i32 v12, v15, 0, 13
	v_cmp_ne_u32_e32 vcc, 0, v5
	v_or_b32_e32 v16, 0x1000, v7
	v_lshrrev_b32_e32 v18, v9, v14
	v_add_u32_e32 v13, 0xfffffc10, v13
	v_lshl_or_b32 v15, v11, 12, v5
	v_cndmask_b32_e64 v5, 0, 1, vcc
	v_cmp_ne_u32_e32 vcc, 0, v7
	v_lshrrev_b32_e32 v19, v12, v16
	v_lshlrev_b32_e32 v9, v9, v18
	v_lshl_or_b32 v17, v13, 12, v7
	v_cndmask_b32_e64 v7, 0, 1, vcc
	v_lshlrev_b32_e32 v12, v12, v19
	v_cmp_ne_u32_e32 vcc, v9, v14
	v_cndmask_b32_e64 v9, 0, 1, vcc
	v_cmp_ne_u32_e32 vcc, v12, v16
	v_cndmask_b32_e64 v12, 0, 1, vcc
	v_or_b32_e32 v9, v18, v9
	v_cmp_gt_i32_e32 vcc, 1, v11
	v_cndmask_b32_e32 v9, v15, v9, vcc
	v_or_b32_e32 v12, v19, v12
	v_cmp_gt_i32_e32 vcc, 1, v13
	v_and_b32_e32 v14, 7, v9
	v_cndmask_b32_e32 v12, v17, v12, vcc
	v_cmp_lt_i32_e32 vcc, 5, v14
	v_cmp_eq_u32_e64 s[0:1], 3, v14
	v_lshrrev_b32_e32 v9, 2, v9
	v_and_b32_e32 v15, 7, v12
	s_or_b64 vcc, s[0:1], vcc
	v_cmp_lt_i32_e64 s[2:3], 5, v15
	v_cmp_eq_u32_e64 s[4:5], 3, v15
	v_addc_co_u32_e32 v9, vcc, 0, v9, vcc
	v_lshrrev_b32_e32 v12, 2, v12
	s_or_b64 vcc, s[4:5], s[2:3]
	v_addc_co_u32_e32 v12, vcc, 0, v12, vcc
	v_cmp_gt_i32_e32 vcc, 31, v11
	v_cndmask_b32_e32 v9, v2, v9, vcc
	v_cmp_gt_i32_e32 vcc, 31, v13
	v_lshl_or_b32 v5, v5, 9, v2
	v_cndmask_b32_e32 v12, v2, v12, vcc
	v_cmp_eq_u32_e32 vcc, s18, v11
	v_lshrrev_b32_e32 v10, 16, v10
	v_lshl_or_b32 v7, v7, 9, v2
	v_cndmask_b32_e32 v5, v9, v5, vcc
	v_cmp_eq_u32_e32 vcc, s18, v13
	v_lshrrev_b32_e32 v8, 16, v8
	v_cndmask_b32_e32 v7, v12, v7, vcc
	v_and_or_b32 v5, v10, s17, v5
	v_and_or_b32 v7, v8, s17, v7
	v_and_b32_e32 v5, 0xffff, v5
	v_lshl_or_b32 v5, v7, 16, v5
	global_store_dword v[3:4], v5, off
	global_load_dword v5, v[0:1], off offset:304
	v_lshrrev_b32_e32 v7, 16, v6
	v_mov_b32_e32 v9, s9
	v_add_co_u32_e32 v3, vcc, s8, v3
	v_addc_co_u32_e32 v4, vcc, v4, v9, vcc
	s_waitcnt vmcnt(0)
	v_mul_f16_sdwa v8, v7, v5 dst_sel:DWORD dst_unused:UNUSED_PAD src0_sel:DWORD src1_sel:WORD_1
	v_fma_f16 v8, v6, v5, v8
	v_mul_f16_sdwa v6, v6, v5 dst_sel:DWORD dst_unused:UNUSED_PAD src0_sel:DWORD src1_sel:WORD_1
	v_cvt_f32_f16_e32 v8, v8
	v_fma_f16 v5, v5, v7, -v6
	v_cvt_f32_f16_e32 v7, v5
	v_cvt_f64_f32_e32 v[5:6], v8
	v_cvt_f64_f32_e32 v[7:8], v7
	v_mul_f64 v[5:6], v[5:6], s[14:15]
	v_mul_f64 v[7:8], v[7:8], s[14:15]
	v_and_or_b32 v5, v6, s16, v5
	v_cmp_ne_u32_e32 vcc, 0, v5
	v_and_or_b32 v7, v8, s16, v7
	v_lshrrev_b32_e32 v9, 8, v6
	v_bfe_u32 v10, v6, 20, 11
	v_cndmask_b32_e64 v5, 0, 1, vcc
	v_cmp_ne_u32_e32 vcc, 0, v7
	v_lshrrev_b32_e32 v11, 8, v8
	v_bfe_u32 v12, v8, 20, 11
	v_sub_u32_e32 v13, 0x3f1, v10
	v_cndmask_b32_e64 v7, 0, 1, vcc
	v_and_or_b32 v5, v9, s10, v5
	v_sub_u32_e32 v14, 0x3f1, v12
	v_med3_i32 v9, v13, 0, 13
	v_and_or_b32 v7, v11, s10, v7
	v_or_b32_e32 v13, 0x1000, v5
	v_add_u32_e32 v10, 0xfffffc10, v10
	v_med3_i32 v11, v14, 0, 13
	v_cmp_ne_u32_e32 vcc, 0, v5
	v_or_b32_e32 v15, 0x1000, v7
	v_lshrrev_b32_e32 v17, v9, v13
	v_add_u32_e32 v12, 0xfffffc10, v12
	v_lshl_or_b32 v14, v10, 12, v5
	v_cndmask_b32_e64 v5, 0, 1, vcc
	v_cmp_ne_u32_e32 vcc, 0, v7
	v_lshrrev_b32_e32 v18, v11, v15
	v_lshlrev_b32_e32 v9, v9, v17
	v_lshl_or_b32 v16, v12, 12, v7
	v_cndmask_b32_e64 v7, 0, 1, vcc
	v_lshlrev_b32_e32 v11, v11, v18
	v_cmp_ne_u32_e32 vcc, v9, v13
	v_cndmask_b32_e64 v9, 0, 1, vcc
	v_cmp_ne_u32_e32 vcc, v11, v15
	v_cndmask_b32_e64 v11, 0, 1, vcc
	v_or_b32_e32 v9, v17, v9
	v_cmp_gt_i32_e32 vcc, 1, v10
	v_cndmask_b32_e32 v9, v14, v9, vcc
	v_or_b32_e32 v11, v18, v11
	v_cmp_gt_i32_e32 vcc, 1, v12
	v_and_b32_e32 v13, 7, v9
	v_cndmask_b32_e32 v11, v16, v11, vcc
	v_cmp_lt_i32_e32 vcc, 5, v13
	v_cmp_eq_u32_e64 s[0:1], 3, v13
	v_lshrrev_b32_e32 v9, 2, v9
	v_and_b32_e32 v14, 7, v11
	s_or_b64 vcc, s[0:1], vcc
	v_cmp_lt_i32_e64 s[2:3], 5, v14
	v_cmp_eq_u32_e64 s[4:5], 3, v14
	v_addc_co_u32_e32 v9, vcc, 0, v9, vcc
	v_lshrrev_b32_e32 v11, 2, v11
	s_or_b64 vcc, s[4:5], s[2:3]
	v_addc_co_u32_e32 v11, vcc, 0, v11, vcc
	v_cmp_gt_i32_e32 vcc, 31, v10
	v_cndmask_b32_e32 v9, v2, v9, vcc
	v_cmp_gt_i32_e32 vcc, 31, v12
	v_lshl_or_b32 v5, v5, 9, v2
	v_cndmask_b32_e32 v11, v2, v11, vcc
	v_cmp_eq_u32_e32 vcc, s18, v10
	v_lshrrev_b32_e32 v6, 16, v6
	v_lshl_or_b32 v7, v7, 9, v2
	v_cndmask_b32_e32 v5, v9, v5, vcc
	v_cmp_eq_u32_e32 vcc, s18, v12
	v_lshrrev_b32_e32 v8, 16, v8
	v_cndmask_b32_e32 v7, v11, v7, vcc
	v_and_or_b32 v5, v6, s17, v5
	v_and_or_b32 v6, v8, s17, v7
	v_and_b32_e32 v5, 0xffff, v5
	v_lshl_or_b32 v5, v6, 16, v5
	global_store_dword v[3:4], v5, off
	global_load_dword v7, v[0:1], off offset:744
	v_add_u32_e32 v5, 0x1200, v36
	ds_read2_b32 v[5:6], v5 offset0:58 offset1:168
	v_add_co_u32_e32 v3, vcc, s8, v3
	s_waitcnt lgkmcnt(0)
	v_lshrrev_b32_e32 v8, 16, v5
	s_waitcnt vmcnt(0)
	v_mul_f16_sdwa v9, v8, v7 dst_sel:DWORD dst_unused:UNUSED_PAD src0_sel:DWORD src1_sel:WORD_1
	v_fma_f16 v9, v5, v7, v9
	v_mul_f16_sdwa v5, v5, v7 dst_sel:DWORD dst_unused:UNUSED_PAD src0_sel:DWORD src1_sel:WORD_1
	v_cvt_f32_f16_e32 v9, v9
	v_fma_f16 v5, v7, v8, -v5
	v_cvt_f32_f16_e32 v5, v5
	v_cvt_f64_f32_e32 v[7:8], v9
	v_cvt_f64_f32_e32 v[9:10], v5
	v_mov_b32_e32 v5, s9
	v_mul_f64 v[7:8], v[7:8], s[14:15]
	v_addc_co_u32_e32 v4, vcc, v4, v5, vcc
	v_mul_f64 v[9:10], v[9:10], s[14:15]
	v_and_or_b32 v5, v8, s16, v7
	v_cmp_ne_u32_e32 vcc, 0, v5
	v_lshrrev_b32_e32 v7, 8, v8
	v_and_or_b32 v9, v10, s16, v9
	v_bfe_u32 v11, v8, 20, 11
	v_cndmask_b32_e64 v5, 0, 1, vcc
	v_cmp_ne_u32_e32 vcc, 0, v9
	v_lshrrev_b32_e32 v12, 8, v10
	v_bfe_u32 v13, v10, 20, 11
	v_sub_u32_e32 v14, 0x3f1, v11
	v_cndmask_b32_e64 v9, 0, 1, vcc
	v_and_or_b32 v5, v7, s10, v5
	v_sub_u32_e32 v15, 0x3f1, v13
	v_med3_i32 v7, v14, 0, 13
	v_and_or_b32 v9, v12, s10, v9
	v_or_b32_e32 v14, 0x1000, v5
	v_add_u32_e32 v11, 0xfffffc10, v11
	v_med3_i32 v12, v15, 0, 13
	v_cmp_ne_u32_e32 vcc, 0, v5
	v_or_b32_e32 v16, 0x1000, v9
	v_lshrrev_b32_e32 v18, v7, v14
	v_add_u32_e32 v13, 0xfffffc10, v13
	v_lshl_or_b32 v15, v11, 12, v5
	v_cndmask_b32_e64 v5, 0, 1, vcc
	v_cmp_ne_u32_e32 vcc, 0, v9
	v_lshrrev_b32_e32 v19, v12, v16
	v_lshlrev_b32_e32 v7, v7, v18
	v_lshl_or_b32 v17, v13, 12, v9
	v_cndmask_b32_e64 v9, 0, 1, vcc
	v_lshlrev_b32_e32 v12, v12, v19
	v_cmp_ne_u32_e32 vcc, v7, v14
	v_cndmask_b32_e64 v7, 0, 1, vcc
	v_cmp_ne_u32_e32 vcc, v12, v16
	v_cndmask_b32_e64 v12, 0, 1, vcc
	v_or_b32_e32 v7, v18, v7
	v_cmp_gt_i32_e32 vcc, 1, v11
	v_cndmask_b32_e32 v7, v15, v7, vcc
	v_or_b32_e32 v12, v19, v12
	v_cmp_gt_i32_e32 vcc, 1, v13
	v_and_b32_e32 v14, 7, v7
	v_cndmask_b32_e32 v12, v17, v12, vcc
	v_cmp_lt_i32_e32 vcc, 5, v14
	v_cmp_eq_u32_e64 s[0:1], 3, v14
	v_lshrrev_b32_e32 v7, 2, v7
	v_and_b32_e32 v15, 7, v12
	s_or_b64 vcc, s[0:1], vcc
	v_cmp_lt_i32_e64 s[2:3], 5, v15
	v_cmp_eq_u32_e64 s[4:5], 3, v15
	v_addc_co_u32_e32 v7, vcc, 0, v7, vcc
	v_lshrrev_b32_e32 v12, 2, v12
	s_or_b64 vcc, s[4:5], s[2:3]
	v_addc_co_u32_e32 v12, vcc, 0, v12, vcc
	v_cmp_gt_i32_e32 vcc, 31, v11
	v_cndmask_b32_e32 v7, v2, v7, vcc
	v_cmp_gt_i32_e32 vcc, 31, v13
	v_lshl_or_b32 v5, v5, 9, v2
	v_cndmask_b32_e32 v12, v2, v12, vcc
	v_cmp_eq_u32_e32 vcc, s18, v11
	v_lshrrev_b32_e32 v8, 16, v8
	v_lshl_or_b32 v9, v9, 9, v2
	v_cndmask_b32_e32 v5, v7, v5, vcc
	v_cmp_eq_u32_e32 vcc, s18, v13
	v_lshrrev_b32_e32 v10, 16, v10
	v_cndmask_b32_e32 v7, v12, v9, vcc
	v_and_or_b32 v5, v8, s17, v5
	v_and_or_b32 v7, v10, s17, v7
	v_and_b32_e32 v5, 0xffff, v5
	v_lshl_or_b32 v5, v7, 16, v5
	global_store_dword v[3:4], v5, off
	global_load_dword v5, v[0:1], off offset:1184
	v_lshrrev_b32_e32 v7, 16, v6
	v_mov_b32_e32 v9, s9
	v_add_co_u32_e32 v3, vcc, s8, v3
	v_addc_co_u32_e32 v4, vcc, v4, v9, vcc
	s_waitcnt vmcnt(0)
	v_mul_f16_sdwa v8, v7, v5 dst_sel:DWORD dst_unused:UNUSED_PAD src0_sel:DWORD src1_sel:WORD_1
	v_fma_f16 v8, v6, v5, v8
	v_mul_f16_sdwa v6, v6, v5 dst_sel:DWORD dst_unused:UNUSED_PAD src0_sel:DWORD src1_sel:WORD_1
	v_cvt_f32_f16_e32 v8, v8
	v_fma_f16 v5, v5, v7, -v6
	v_cvt_f32_f16_e32 v7, v5
	v_cvt_f64_f32_e32 v[5:6], v8
	v_cvt_f64_f32_e32 v[7:8], v7
	v_mul_f64 v[5:6], v[5:6], s[14:15]
	v_mul_f64 v[7:8], v[7:8], s[14:15]
	v_and_or_b32 v5, v6, s16, v5
	v_cmp_ne_u32_e32 vcc, 0, v5
	v_and_or_b32 v7, v8, s16, v7
	v_lshrrev_b32_e32 v9, 8, v6
	v_bfe_u32 v10, v6, 20, 11
	v_cndmask_b32_e64 v5, 0, 1, vcc
	v_cmp_ne_u32_e32 vcc, 0, v7
	v_lshrrev_b32_e32 v11, 8, v8
	v_bfe_u32 v12, v8, 20, 11
	v_sub_u32_e32 v13, 0x3f1, v10
	v_cndmask_b32_e64 v7, 0, 1, vcc
	v_and_or_b32 v5, v9, s10, v5
	v_sub_u32_e32 v14, 0x3f1, v12
	v_med3_i32 v9, v13, 0, 13
	v_and_or_b32 v7, v11, s10, v7
	v_or_b32_e32 v13, 0x1000, v5
	v_add_u32_e32 v10, 0xfffffc10, v10
	v_med3_i32 v11, v14, 0, 13
	v_cmp_ne_u32_e32 vcc, 0, v5
	v_or_b32_e32 v15, 0x1000, v7
	v_lshrrev_b32_e32 v17, v9, v13
	v_add_u32_e32 v12, 0xfffffc10, v12
	v_lshl_or_b32 v14, v10, 12, v5
	v_cndmask_b32_e64 v5, 0, 1, vcc
	v_cmp_ne_u32_e32 vcc, 0, v7
	v_lshrrev_b32_e32 v18, v11, v15
	v_lshlrev_b32_e32 v9, v9, v17
	v_lshl_or_b32 v16, v12, 12, v7
	v_cndmask_b32_e64 v7, 0, 1, vcc
	v_lshlrev_b32_e32 v11, v11, v18
	v_cmp_ne_u32_e32 vcc, v9, v13
	v_cndmask_b32_e64 v9, 0, 1, vcc
	v_cmp_ne_u32_e32 vcc, v11, v15
	v_cndmask_b32_e64 v11, 0, 1, vcc
	v_or_b32_e32 v9, v17, v9
	v_cmp_gt_i32_e32 vcc, 1, v10
	v_cndmask_b32_e32 v9, v14, v9, vcc
	v_or_b32_e32 v11, v18, v11
	v_cmp_gt_i32_e32 vcc, 1, v12
	v_and_b32_e32 v13, 7, v9
	v_cndmask_b32_e32 v11, v16, v11, vcc
	v_cmp_lt_i32_e32 vcc, 5, v13
	v_cmp_eq_u32_e64 s[0:1], 3, v13
	v_lshrrev_b32_e32 v9, 2, v9
	v_and_b32_e32 v14, 7, v11
	s_or_b64 vcc, s[0:1], vcc
	v_cmp_lt_i32_e64 s[2:3], 5, v14
	v_cmp_eq_u32_e64 s[4:5], 3, v14
	v_addc_co_u32_e32 v9, vcc, 0, v9, vcc
	v_lshrrev_b32_e32 v11, 2, v11
	s_or_b64 vcc, s[4:5], s[2:3]
	v_addc_co_u32_e32 v11, vcc, 0, v11, vcc
	v_cmp_gt_i32_e32 vcc, 31, v10
	v_cndmask_b32_e32 v9, v2, v9, vcc
	v_cmp_gt_i32_e32 vcc, 31, v12
	v_lshl_or_b32 v5, v5, 9, v2
	v_cndmask_b32_e32 v11, v2, v11, vcc
	v_cmp_eq_u32_e32 vcc, s18, v10
	v_lshrrev_b32_e32 v6, 16, v6
	v_lshl_or_b32 v7, v7, 9, v2
	v_cndmask_b32_e32 v5, v9, v5, vcc
	v_cmp_eq_u32_e32 vcc, s18, v12
	v_lshrrev_b32_e32 v8, 16, v8
	v_cndmask_b32_e32 v7, v11, v7, vcc
	v_and_or_b32 v5, v6, s17, v5
	v_and_or_b32 v6, v8, s17, v7
	v_and_b32_e32 v5, 0xffff, v5
	v_lshl_or_b32 v5, v6, 16, v5
	global_store_dword v[3:4], v5, off
	global_load_dword v7, v[0:1], off offset:1624
	v_add_u32_e32 v5, 0x1600, v36
	ds_read2_b32 v[5:6], v5 offset0:22 offset1:132
	v_add_co_u32_e32 v3, vcc, s8, v3
	s_waitcnt lgkmcnt(0)
	v_lshrrev_b32_e32 v8, 16, v5
	s_waitcnt vmcnt(0)
	v_mul_f16_sdwa v9, v8, v7 dst_sel:DWORD dst_unused:UNUSED_PAD src0_sel:DWORD src1_sel:WORD_1
	v_fma_f16 v9, v5, v7, v9
	v_mul_f16_sdwa v5, v5, v7 dst_sel:DWORD dst_unused:UNUSED_PAD src0_sel:DWORD src1_sel:WORD_1
	v_cvt_f32_f16_e32 v9, v9
	v_fma_f16 v5, v7, v8, -v5
	v_cvt_f32_f16_e32 v5, v5
	v_cvt_f64_f32_e32 v[7:8], v9
	v_cvt_f64_f32_e32 v[9:10], v5
	v_mov_b32_e32 v5, s9
	v_mul_f64 v[7:8], v[7:8], s[14:15]
	v_addc_co_u32_e32 v4, vcc, v4, v5, vcc
	v_mul_f64 v[9:10], v[9:10], s[14:15]
	v_and_or_b32 v5, v8, s16, v7
	v_cmp_ne_u32_e32 vcc, 0, v5
	v_lshrrev_b32_e32 v7, 8, v8
	v_and_or_b32 v9, v10, s16, v9
	v_bfe_u32 v11, v8, 20, 11
	v_cndmask_b32_e64 v5, 0, 1, vcc
	v_cmp_ne_u32_e32 vcc, 0, v9
	v_lshrrev_b32_e32 v12, 8, v10
	v_bfe_u32 v13, v10, 20, 11
	v_sub_u32_e32 v14, 0x3f1, v11
	v_cndmask_b32_e64 v9, 0, 1, vcc
	v_and_or_b32 v5, v7, s10, v5
	v_sub_u32_e32 v15, 0x3f1, v13
	v_med3_i32 v7, v14, 0, 13
	v_and_or_b32 v9, v12, s10, v9
	v_or_b32_e32 v14, 0x1000, v5
	v_add_u32_e32 v11, 0xfffffc10, v11
	v_med3_i32 v12, v15, 0, 13
	v_cmp_ne_u32_e32 vcc, 0, v5
	v_or_b32_e32 v16, 0x1000, v9
	v_lshrrev_b32_e32 v18, v7, v14
	v_add_u32_e32 v13, 0xfffffc10, v13
	v_lshl_or_b32 v15, v11, 12, v5
	v_cndmask_b32_e64 v5, 0, 1, vcc
	v_cmp_ne_u32_e32 vcc, 0, v9
	v_lshrrev_b32_e32 v19, v12, v16
	v_lshlrev_b32_e32 v7, v7, v18
	v_lshl_or_b32 v17, v13, 12, v9
	v_cndmask_b32_e64 v9, 0, 1, vcc
	v_lshlrev_b32_e32 v12, v12, v19
	v_cmp_ne_u32_e32 vcc, v7, v14
	v_cndmask_b32_e64 v7, 0, 1, vcc
	v_cmp_ne_u32_e32 vcc, v12, v16
	v_cndmask_b32_e64 v12, 0, 1, vcc
	v_or_b32_e32 v7, v18, v7
	v_cmp_gt_i32_e32 vcc, 1, v11
	v_cndmask_b32_e32 v7, v15, v7, vcc
	v_or_b32_e32 v12, v19, v12
	v_cmp_gt_i32_e32 vcc, 1, v13
	v_and_b32_e32 v14, 7, v7
	v_cndmask_b32_e32 v12, v17, v12, vcc
	v_cmp_lt_i32_e32 vcc, 5, v14
	v_cmp_eq_u32_e64 s[0:1], 3, v14
	v_lshrrev_b32_e32 v7, 2, v7
	v_and_b32_e32 v15, 7, v12
	s_or_b64 vcc, s[0:1], vcc
	v_cmp_lt_i32_e64 s[2:3], 5, v15
	v_cmp_eq_u32_e64 s[4:5], 3, v15
	v_addc_co_u32_e32 v7, vcc, 0, v7, vcc
	v_lshrrev_b32_e32 v12, 2, v12
	s_or_b64 vcc, s[4:5], s[2:3]
	v_addc_co_u32_e32 v12, vcc, 0, v12, vcc
	v_cmp_gt_i32_e32 vcc, 31, v11
	v_cndmask_b32_e32 v7, v2, v7, vcc
	v_cmp_gt_i32_e32 vcc, 31, v13
	v_lshl_or_b32 v5, v5, 9, v2
	v_cndmask_b32_e32 v12, v2, v12, vcc
	v_cmp_eq_u32_e32 vcc, s18, v11
	v_lshrrev_b32_e32 v8, 16, v8
	v_lshl_or_b32 v9, v9, 9, v2
	v_cndmask_b32_e32 v5, v7, v5, vcc
	v_cmp_eq_u32_e32 vcc, s18, v13
	v_lshrrev_b32_e32 v10, 16, v10
	v_cndmask_b32_e32 v7, v12, v9, vcc
	v_and_or_b32 v5, v8, s17, v5
	v_and_or_b32 v7, v10, s17, v7
	v_and_b32_e32 v5, 0xffff, v5
	v_lshl_or_b32 v5, v7, 16, v5
	global_store_dword v[3:4], v5, off
	global_load_dword v5, v[0:1], off offset:2064
	v_lshrrev_b32_e32 v7, 16, v6
	v_mov_b32_e32 v9, s9
	v_add_co_u32_e32 v3, vcc, s8, v3
	v_addc_co_u32_e32 v4, vcc, v4, v9, vcc
	s_waitcnt vmcnt(0)
	v_mul_f16_sdwa v8, v7, v5 dst_sel:DWORD dst_unused:UNUSED_PAD src0_sel:DWORD src1_sel:WORD_1
	v_fma_f16 v8, v6, v5, v8
	v_mul_f16_sdwa v6, v6, v5 dst_sel:DWORD dst_unused:UNUSED_PAD src0_sel:DWORD src1_sel:WORD_1
	v_cvt_f32_f16_e32 v8, v8
	v_fma_f16 v5, v5, v7, -v6
	v_cvt_f32_f16_e32 v7, v5
	v_cvt_f64_f32_e32 v[5:6], v8
	v_cvt_f64_f32_e32 v[7:8], v7
	v_mul_f64 v[5:6], v[5:6], s[14:15]
	v_mul_f64 v[7:8], v[7:8], s[14:15]
	v_and_or_b32 v5, v6, s16, v5
	v_cmp_ne_u32_e32 vcc, 0, v5
	v_and_or_b32 v7, v8, s16, v7
	v_lshrrev_b32_e32 v9, 8, v6
	v_bfe_u32 v10, v6, 20, 11
	v_cndmask_b32_e64 v5, 0, 1, vcc
	v_cmp_ne_u32_e32 vcc, 0, v7
	v_lshrrev_b32_e32 v11, 8, v8
	v_bfe_u32 v12, v8, 20, 11
	v_sub_u32_e32 v13, 0x3f1, v10
	v_cndmask_b32_e64 v7, 0, 1, vcc
	v_and_or_b32 v5, v9, s10, v5
	v_sub_u32_e32 v14, 0x3f1, v12
	v_med3_i32 v9, v13, 0, 13
	v_and_or_b32 v7, v11, s10, v7
	v_or_b32_e32 v13, 0x1000, v5
	v_add_u32_e32 v10, 0xfffffc10, v10
	v_med3_i32 v11, v14, 0, 13
	v_cmp_ne_u32_e32 vcc, 0, v5
	v_or_b32_e32 v15, 0x1000, v7
	v_lshrrev_b32_e32 v17, v9, v13
	v_add_u32_e32 v12, 0xfffffc10, v12
	v_lshl_or_b32 v14, v10, 12, v5
	v_cndmask_b32_e64 v5, 0, 1, vcc
	v_cmp_ne_u32_e32 vcc, 0, v7
	v_lshrrev_b32_e32 v18, v11, v15
	v_lshlrev_b32_e32 v9, v9, v17
	v_lshl_or_b32 v16, v12, 12, v7
	v_cndmask_b32_e64 v7, 0, 1, vcc
	v_lshlrev_b32_e32 v11, v11, v18
	v_cmp_ne_u32_e32 vcc, v9, v13
	v_cndmask_b32_e64 v9, 0, 1, vcc
	v_cmp_ne_u32_e32 vcc, v11, v15
	v_cndmask_b32_e64 v11, 0, 1, vcc
	v_or_b32_e32 v9, v17, v9
	v_cmp_gt_i32_e32 vcc, 1, v10
	v_cndmask_b32_e32 v9, v14, v9, vcc
	v_or_b32_e32 v11, v18, v11
	v_cmp_gt_i32_e32 vcc, 1, v12
	v_and_b32_e32 v13, 7, v9
	v_cndmask_b32_e32 v11, v16, v11, vcc
	v_cmp_lt_i32_e32 vcc, 5, v13
	v_cmp_eq_u32_e64 s[0:1], 3, v13
	v_lshrrev_b32_e32 v9, 2, v9
	v_and_b32_e32 v14, 7, v11
	s_or_b64 vcc, s[0:1], vcc
	v_cmp_lt_i32_e64 s[2:3], 5, v14
	v_cmp_eq_u32_e64 s[4:5], 3, v14
	v_addc_co_u32_e32 v9, vcc, 0, v9, vcc
	v_lshrrev_b32_e32 v11, 2, v11
	s_or_b64 vcc, s[4:5], s[2:3]
	v_addc_co_u32_e32 v11, vcc, 0, v11, vcc
	v_cmp_gt_i32_e32 vcc, 31, v10
	v_cndmask_b32_e32 v9, v2, v9, vcc
	v_cmp_gt_i32_e32 vcc, 31, v12
	v_lshl_or_b32 v5, v5, 9, v2
	v_cndmask_b32_e32 v11, v2, v11, vcc
	v_cmp_eq_u32_e32 vcc, s18, v10
	v_lshrrev_b32_e32 v6, 16, v6
	v_lshl_or_b32 v7, v7, 9, v2
	v_cndmask_b32_e32 v5, v9, v5, vcc
	v_cmp_eq_u32_e32 vcc, s18, v12
	v_lshrrev_b32_e32 v8, 16, v8
	v_cndmask_b32_e32 v7, v11, v7, vcc
	v_and_or_b32 v5, v6, s17, v5
	v_and_or_b32 v6, v8, s17, v7
	v_and_b32_e32 v5, 0xffff, v5
	v_lshl_or_b32 v5, v6, 16, v5
	global_store_dword v[3:4], v5, off
	global_load_dword v7, v[0:1], off offset:2504
	v_add_u32_e32 v5, 0x1800, v36
	ds_read2_b32 v[5:6], v5 offset0:114 offset1:224
	v_add_co_u32_e32 v3, vcc, s8, v3
	s_waitcnt lgkmcnt(0)
	v_lshrrev_b32_e32 v8, 16, v5
	s_waitcnt vmcnt(0)
	v_mul_f16_sdwa v9, v8, v7 dst_sel:DWORD dst_unused:UNUSED_PAD src0_sel:DWORD src1_sel:WORD_1
	v_fma_f16 v9, v5, v7, v9
	v_mul_f16_sdwa v5, v5, v7 dst_sel:DWORD dst_unused:UNUSED_PAD src0_sel:DWORD src1_sel:WORD_1
	v_cvt_f32_f16_e32 v9, v9
	v_fma_f16 v5, v7, v8, -v5
	v_cvt_f32_f16_e32 v5, v5
	v_cvt_f64_f32_e32 v[7:8], v9
	v_cvt_f64_f32_e32 v[9:10], v5
	v_mov_b32_e32 v5, s9
	v_mul_f64 v[7:8], v[7:8], s[14:15]
	v_addc_co_u32_e32 v4, vcc, v4, v5, vcc
	v_mul_f64 v[9:10], v[9:10], s[14:15]
	v_and_or_b32 v5, v8, s16, v7
	v_cmp_ne_u32_e32 vcc, 0, v5
	v_lshrrev_b32_e32 v7, 8, v8
	v_and_or_b32 v9, v10, s16, v9
	v_bfe_u32 v11, v8, 20, 11
	v_cndmask_b32_e64 v5, 0, 1, vcc
	v_cmp_ne_u32_e32 vcc, 0, v9
	v_lshrrev_b32_e32 v12, 8, v10
	v_bfe_u32 v13, v10, 20, 11
	v_sub_u32_e32 v14, 0x3f1, v11
	v_cndmask_b32_e64 v9, 0, 1, vcc
	v_and_or_b32 v5, v7, s10, v5
	v_sub_u32_e32 v15, 0x3f1, v13
	v_med3_i32 v7, v14, 0, 13
	v_and_or_b32 v9, v12, s10, v9
	v_or_b32_e32 v14, 0x1000, v5
	v_add_u32_e32 v11, 0xfffffc10, v11
	v_med3_i32 v12, v15, 0, 13
	v_cmp_ne_u32_e32 vcc, 0, v5
	v_or_b32_e32 v16, 0x1000, v9
	v_lshrrev_b32_e32 v18, v7, v14
	v_add_u32_e32 v13, 0xfffffc10, v13
	v_lshl_or_b32 v15, v11, 12, v5
	v_cndmask_b32_e64 v5, 0, 1, vcc
	v_cmp_ne_u32_e32 vcc, 0, v9
	v_lshrrev_b32_e32 v19, v12, v16
	v_lshlrev_b32_e32 v7, v7, v18
	v_lshl_or_b32 v17, v13, 12, v9
	v_cndmask_b32_e64 v9, 0, 1, vcc
	v_lshlrev_b32_e32 v12, v12, v19
	v_cmp_ne_u32_e32 vcc, v7, v14
	v_cndmask_b32_e64 v7, 0, 1, vcc
	v_cmp_ne_u32_e32 vcc, v12, v16
	v_cndmask_b32_e64 v12, 0, 1, vcc
	v_or_b32_e32 v7, v18, v7
	v_cmp_gt_i32_e32 vcc, 1, v11
	v_cndmask_b32_e32 v7, v15, v7, vcc
	v_or_b32_e32 v12, v19, v12
	v_cmp_gt_i32_e32 vcc, 1, v13
	v_and_b32_e32 v14, 7, v7
	v_cndmask_b32_e32 v12, v17, v12, vcc
	v_cmp_lt_i32_e32 vcc, 5, v14
	v_cmp_eq_u32_e64 s[0:1], 3, v14
	v_lshrrev_b32_e32 v7, 2, v7
	v_and_b32_e32 v15, 7, v12
	s_or_b64 vcc, s[0:1], vcc
	v_cmp_lt_i32_e64 s[2:3], 5, v15
	v_cmp_eq_u32_e64 s[4:5], 3, v15
	v_addc_co_u32_e32 v7, vcc, 0, v7, vcc
	v_lshrrev_b32_e32 v12, 2, v12
	s_or_b64 vcc, s[4:5], s[2:3]
	v_addc_co_u32_e32 v12, vcc, 0, v12, vcc
	v_cmp_gt_i32_e32 vcc, 31, v11
	v_cndmask_b32_e32 v7, v2, v7, vcc
	v_cmp_gt_i32_e32 vcc, 31, v13
	v_lshl_or_b32 v5, v5, 9, v2
	v_cndmask_b32_e32 v12, v2, v12, vcc
	v_cmp_eq_u32_e32 vcc, s18, v11
	v_lshrrev_b32_e32 v8, 16, v8
	v_lshl_or_b32 v9, v9, 9, v2
	v_cndmask_b32_e32 v5, v7, v5, vcc
	v_cmp_eq_u32_e32 vcc, s18, v13
	v_lshrrev_b32_e32 v10, 16, v10
	v_cndmask_b32_e32 v7, v12, v9, vcc
	v_and_or_b32 v5, v8, s17, v5
	v_and_or_b32 v7, v10, s17, v7
	v_and_b32_e32 v5, 0xffff, v5
	v_lshl_or_b32 v5, v7, 16, v5
	global_store_dword v[3:4], v5, off
	global_load_dword v0, v[0:1], off offset:2944
	v_lshrrev_b32_e32 v1, 16, v6
	v_mov_b32_e32 v7, s9
	s_waitcnt vmcnt(0)
	v_mul_f16_sdwa v5, v1, v0 dst_sel:DWORD dst_unused:UNUSED_PAD src0_sel:DWORD src1_sel:WORD_1
	v_fma_f16 v5, v6, v0, v5
	v_mul_f16_sdwa v6, v6, v0 dst_sel:DWORD dst_unused:UNUSED_PAD src0_sel:DWORD src1_sel:WORD_1
	v_cvt_f32_f16_e32 v5, v5
	v_fma_f16 v0, v0, v1, -v6
	v_cvt_f32_f16_e32 v6, v0
	v_cvt_f64_f32_e32 v[0:1], v5
	v_cvt_f64_f32_e32 v[5:6], v6
	v_mul_f64 v[0:1], v[0:1], s[14:15]
	v_mul_f64 v[5:6], v[5:6], s[14:15]
	v_and_or_b32 v0, v1, s16, v0
	v_cmp_ne_u32_e32 vcc, 0, v0
	v_and_or_b32 v5, v6, s16, v5
	v_lshrrev_b32_e32 v8, 8, v1
	v_bfe_u32 v9, v1, 20, 11
	v_cndmask_b32_e64 v0, 0, 1, vcc
	v_cmp_ne_u32_e32 vcc, 0, v5
	v_lshrrev_b32_e32 v10, 8, v6
	v_bfe_u32 v11, v6, 20, 11
	v_sub_u32_e32 v12, 0x3f1, v9
	v_cndmask_b32_e64 v5, 0, 1, vcc
	v_and_or_b32 v0, v8, s10, v0
	v_sub_u32_e32 v13, 0x3f1, v11
	v_med3_i32 v8, v12, 0, 13
	v_and_or_b32 v5, v10, s10, v5
	v_or_b32_e32 v12, 0x1000, v0
	v_add_u32_e32 v9, 0xfffffc10, v9
	v_med3_i32 v10, v13, 0, 13
	v_cmp_ne_u32_e32 vcc, 0, v0
	v_or_b32_e32 v14, 0x1000, v5
	v_lshrrev_b32_e32 v16, v8, v12
	v_add_u32_e32 v11, 0xfffffc10, v11
	v_lshl_or_b32 v13, v9, 12, v0
	v_cndmask_b32_e64 v0, 0, 1, vcc
	v_cmp_ne_u32_e32 vcc, 0, v5
	v_lshrrev_b32_e32 v17, v10, v14
	v_lshlrev_b32_e32 v8, v8, v16
	v_lshl_or_b32 v15, v11, 12, v5
	v_cndmask_b32_e64 v5, 0, 1, vcc
	v_lshlrev_b32_e32 v10, v10, v17
	v_cmp_ne_u32_e32 vcc, v8, v12
	v_cndmask_b32_e64 v8, 0, 1, vcc
	v_cmp_ne_u32_e32 vcc, v10, v14
	v_cndmask_b32_e64 v10, 0, 1, vcc
	v_or_b32_e32 v8, v16, v8
	v_cmp_gt_i32_e32 vcc, 1, v9
	v_cndmask_b32_e32 v8, v13, v8, vcc
	v_or_b32_e32 v10, v17, v10
	v_cmp_gt_i32_e32 vcc, 1, v11
	v_and_b32_e32 v12, 7, v8
	v_cndmask_b32_e32 v10, v15, v10, vcc
	v_cmp_lt_i32_e32 vcc, 5, v12
	v_cmp_eq_u32_e64 s[0:1], 3, v12
	v_lshrrev_b32_e32 v8, 2, v8
	v_and_b32_e32 v13, 7, v10
	s_or_b64 vcc, s[0:1], vcc
	v_cmp_lt_i32_e64 s[2:3], 5, v13
	v_cmp_eq_u32_e64 s[4:5], 3, v13
	v_addc_co_u32_e32 v8, vcc, 0, v8, vcc
	v_lshrrev_b32_e32 v10, 2, v10
	s_or_b64 vcc, s[4:5], s[2:3]
	v_addc_co_u32_e32 v10, vcc, 0, v10, vcc
	v_cmp_gt_i32_e32 vcc, 31, v9
	v_cndmask_b32_e32 v8, v2, v8, vcc
	v_cmp_gt_i32_e32 vcc, 31, v11
	v_lshl_or_b32 v0, v0, 9, v2
	v_lshl_or_b32 v5, v5, 9, v2
	v_cndmask_b32_e32 v2, v2, v10, vcc
	v_cmp_eq_u32_e32 vcc, s18, v9
	v_lshrrev_b32_e32 v1, 16, v1
	v_cndmask_b32_e32 v0, v8, v0, vcc
	v_cmp_eq_u32_e32 vcc, s18, v11
	v_lshrrev_b32_e32 v6, 16, v6
	v_cndmask_b32_e32 v2, v2, v5, vcc
	v_and_or_b32 v0, v1, s17, v0
	v_and_or_b32 v1, v6, s17, v2
	v_and_b32_e32 v0, 0xffff, v0
	v_lshl_or_b32 v2, v1, 16, v0
	v_add_co_u32_e32 v0, vcc, s8, v3
	v_addc_co_u32_e32 v1, vcc, v4, v7, vcc
	global_store_dword v[0:1], v2, off
.LBB0_23:
	s_endpgm
	.section	.rodata,"a",@progbits
	.p2align	6, 0x0
	.amdhsa_kernel bluestein_single_fwd_len1870_dim1_half_op_CI_CI
		.amdhsa_group_segment_fixed_size 7480
		.amdhsa_private_segment_fixed_size 0
		.amdhsa_kernarg_size 104
		.amdhsa_user_sgpr_count 6
		.amdhsa_user_sgpr_private_segment_buffer 1
		.amdhsa_user_sgpr_dispatch_ptr 0
		.amdhsa_user_sgpr_queue_ptr 0
		.amdhsa_user_sgpr_kernarg_segment_ptr 1
		.amdhsa_user_sgpr_dispatch_id 0
		.amdhsa_user_sgpr_flat_scratch_init 0
		.amdhsa_user_sgpr_private_segment_size 0
		.amdhsa_uses_dynamic_stack 0
		.amdhsa_system_sgpr_private_segment_wavefront_offset 0
		.amdhsa_system_sgpr_workgroup_id_x 1
		.amdhsa_system_sgpr_workgroup_id_y 0
		.amdhsa_system_sgpr_workgroup_id_z 0
		.amdhsa_system_sgpr_workgroup_info 0
		.amdhsa_system_vgpr_workitem_id 0
		.amdhsa_next_free_vgpr 253
		.amdhsa_next_free_sgpr 43
		.amdhsa_reserve_vcc 1
		.amdhsa_reserve_flat_scratch 0
		.amdhsa_float_round_mode_32 0
		.amdhsa_float_round_mode_16_64 0
		.amdhsa_float_denorm_mode_32 3
		.amdhsa_float_denorm_mode_16_64 3
		.amdhsa_dx10_clamp 1
		.amdhsa_ieee_mode 1
		.amdhsa_fp16_overflow 0
		.amdhsa_exception_fp_ieee_invalid_op 0
		.amdhsa_exception_fp_denorm_src 0
		.amdhsa_exception_fp_ieee_div_zero 0
		.amdhsa_exception_fp_ieee_overflow 0
		.amdhsa_exception_fp_ieee_underflow 0
		.amdhsa_exception_fp_ieee_inexact 0
		.amdhsa_exception_int_div_zero 0
	.end_amdhsa_kernel
	.text
.Lfunc_end0:
	.size	bluestein_single_fwd_len1870_dim1_half_op_CI_CI, .Lfunc_end0-bluestein_single_fwd_len1870_dim1_half_op_CI_CI
                                        ; -- End function
	.section	.AMDGPU.csdata,"",@progbits
; Kernel info:
; codeLenInByte = 30192
; NumSgprs: 47
; NumVgprs: 253
; ScratchSize: 0
; MemoryBound: 0
; FloatMode: 240
; IeeeMode: 1
; LDSByteSize: 7480 bytes/workgroup (compile time only)
; SGPRBlocks: 5
; VGPRBlocks: 63
; NumSGPRsForWavesPerEU: 47
; NumVGPRsForWavesPerEU: 253
; Occupancy: 1
; WaveLimiterHint : 1
; COMPUTE_PGM_RSRC2:SCRATCH_EN: 0
; COMPUTE_PGM_RSRC2:USER_SGPR: 6
; COMPUTE_PGM_RSRC2:TRAP_HANDLER: 0
; COMPUTE_PGM_RSRC2:TGID_X_EN: 1
; COMPUTE_PGM_RSRC2:TGID_Y_EN: 0
; COMPUTE_PGM_RSRC2:TGID_Z_EN: 0
; COMPUTE_PGM_RSRC2:TIDIG_COMP_CNT: 0
	.type	__hip_cuid_1d2587b751b2d958,@object ; @__hip_cuid_1d2587b751b2d958
	.section	.bss,"aw",@nobits
	.globl	__hip_cuid_1d2587b751b2d958
__hip_cuid_1d2587b751b2d958:
	.byte	0                               ; 0x0
	.size	__hip_cuid_1d2587b751b2d958, 1

	.ident	"AMD clang version 19.0.0git (https://github.com/RadeonOpenCompute/llvm-project roc-6.4.0 25133 c7fe45cf4b819c5991fe208aaa96edf142730f1d)"
	.section	".note.GNU-stack","",@progbits
	.addrsig
	.addrsig_sym __hip_cuid_1d2587b751b2d958
	.amdgpu_metadata
---
amdhsa.kernels:
  - .args:
      - .actual_access:  read_only
        .address_space:  global
        .offset:         0
        .size:           8
        .value_kind:     global_buffer
      - .actual_access:  read_only
        .address_space:  global
        .offset:         8
        .size:           8
        .value_kind:     global_buffer
      - .actual_access:  read_only
        .address_space:  global
        .offset:         16
        .size:           8
        .value_kind:     global_buffer
      - .actual_access:  read_only
        .address_space:  global
        .offset:         24
        .size:           8
        .value_kind:     global_buffer
      - .actual_access:  read_only
        .address_space:  global
        .offset:         32
        .size:           8
        .value_kind:     global_buffer
      - .offset:         40
        .size:           8
        .value_kind:     by_value
      - .address_space:  global
        .offset:         48
        .size:           8
        .value_kind:     global_buffer
      - .address_space:  global
        .offset:         56
        .size:           8
        .value_kind:     global_buffer
      - .address_space:  global
        .offset:         64
        .size:           8
        .value_kind:     global_buffer
      - .address_space:  global
        .offset:         72
        .size:           8
        .value_kind:     global_buffer
      - .offset:         80
        .size:           4
        .value_kind:     by_value
      - .address_space:  global
        .offset:         88
        .size:           8
        .value_kind:     global_buffer
      - .address_space:  global
        .offset:         96
        .size:           8
        .value_kind:     global_buffer
    .group_segment_fixed_size: 7480
    .kernarg_segment_align: 8
    .kernarg_segment_size: 104
    .language:       OpenCL C
    .language_version:
      - 2
      - 0
    .max_flat_workgroup_size: 187
    .name:           bluestein_single_fwd_len1870_dim1_half_op_CI_CI
    .private_segment_fixed_size: 0
    .sgpr_count:     47
    .sgpr_spill_count: 0
    .symbol:         bluestein_single_fwd_len1870_dim1_half_op_CI_CI.kd
    .uniform_work_group_size: 1
    .uses_dynamic_stack: false
    .vgpr_count:     253
    .vgpr_spill_count: 0
    .wavefront_size: 64
amdhsa.target:   amdgcn-amd-amdhsa--gfx906
amdhsa.version:
  - 1
  - 2
...

	.end_amdgpu_metadata
